;; amdgpu-corpus repo=ROCm/rocFFT kind=compiled arch=gfx950 opt=O3
	.text
	.amdgcn_target "amdgcn-amd-amdhsa--gfx950"
	.amdhsa_code_object_version 6
	.protected	fft_rtc_fwd_len858_factors_13_11_6_wgs_234_tpt_78_halfLds_sp_op_CI_CI_unitstride_sbrr_R2C_dirReg ; -- Begin function fft_rtc_fwd_len858_factors_13_11_6_wgs_234_tpt_78_halfLds_sp_op_CI_CI_unitstride_sbrr_R2C_dirReg
	.globl	fft_rtc_fwd_len858_factors_13_11_6_wgs_234_tpt_78_halfLds_sp_op_CI_CI_unitstride_sbrr_R2C_dirReg
	.p2align	8
	.type	fft_rtc_fwd_len858_factors_13_11_6_wgs_234_tpt_78_halfLds_sp_op_CI_CI_unitstride_sbrr_R2C_dirReg,@function
fft_rtc_fwd_len858_factors_13_11_6_wgs_234_tpt_78_halfLds_sp_op_CI_CI_unitstride_sbrr_R2C_dirReg: ; @fft_rtc_fwd_len858_factors_13_11_6_wgs_234_tpt_78_halfLds_sp_op_CI_CI_unitstride_sbrr_R2C_dirReg
; %bb.0:
	s_load_dwordx4 s[4:7], s[0:1], 0x58
	s_load_dwordx4 s[8:11], s[0:1], 0x0
	;; [unrolled: 1-line block ×3, first 2 shown]
	v_mul_u32_u24_e32 v1, 0x349, v0
	v_lshrrev_b32_e32 v2, 16, v1
	v_mad_u64_u32 v[4:5], s[2:3], s2, 3, v[2:3]
	v_mov_b32_e32 v6, 0
	v_mov_b32_e32 v5, v6
	s_waitcnt lgkmcnt(0)
	v_cmp_lt_u64_e64 s[2:3], s[10:11], 2
	v_mov_b64_e32 v[2:3], 0
	s_and_b64 vcc, exec, s[2:3]
	v_mov_b64_e32 v[28:29], v[2:3]
	v_mov_b64_e32 v[30:31], v[4:5]
	s_cbranch_vccnz .LBB0_8
; %bb.1:
	s_load_dwordx2 s[2:3], s[0:1], 0x10
	s_add_u32 s16, s14, 8
	s_addc_u32 s17, s15, 0
	s_add_u32 s18, s12, 8
	s_addc_u32 s19, s13, 0
	s_waitcnt lgkmcnt(0)
	s_add_u32 s20, s2, 8
	v_mov_b64_e32 v[2:3], 0
	s_addc_u32 s21, s3, 0
	s_mov_b64 s[22:23], 1
	v_mov_b64_e32 v[28:29], v[2:3]
	v_mov_b64_e32 v[8:9], v[4:5]
.LBB0_2:                                ; =>This Inner Loop Header: Depth=1
	s_load_dwordx2 s[24:25], s[20:21], 0x0
                                        ; implicit-def: $vgpr30_vgpr31
	s_waitcnt lgkmcnt(0)
	v_or_b32_e32 v7, s25, v9
	v_cmp_ne_u64_e32 vcc, 0, v[6:7]
	s_and_saveexec_b64 s[2:3], vcc
	s_xor_b64 s[26:27], exec, s[2:3]
	s_cbranch_execz .LBB0_4
; %bb.3:                                ;   in Loop: Header=BB0_2 Depth=1
	v_cvt_f32_u32_e32 v1, s24
	v_cvt_f32_u32_e32 v5, s25
	s_sub_u32 s2, 0, s24
	s_subb_u32 s3, 0, s25
	v_fmac_f32_e32 v1, 0x4f800000, v5
	v_rcp_f32_e32 v1, v1
	s_nop 0
	v_mul_f32_e32 v1, 0x5f7ffffc, v1
	v_mul_f32_e32 v5, 0x2f800000, v1
	v_trunc_f32_e32 v5, v5
	v_fmac_f32_e32 v1, 0xcf800000, v5
	v_cvt_u32_f32_e32 v5, v5
	v_cvt_u32_f32_e32 v1, v1
	v_mul_lo_u32 v7, s2, v5
	v_mul_hi_u32 v10, s2, v1
	v_mul_lo_u32 v11, s3, v1
	v_add_u32_e32 v7, v10, v7
	v_mul_lo_u32 v14, s2, v1
	v_add_u32_e32 v7, v7, v11
	v_mul_hi_u32 v10, v1, v14
	v_mul_hi_u32 v13, v1, v7
	v_mul_lo_u32 v12, v1, v7
	v_mov_b32_e32 v11, v6
	v_lshl_add_u64 v[10:11], v[10:11], 0, v[12:13]
	v_mul_hi_u32 v13, v5, v14
	v_mul_lo_u32 v14, v5, v14
	v_add_co_u32_e32 v10, vcc, v10, v14
	v_mul_hi_u32 v12, v5, v7
	s_nop 0
	v_addc_co_u32_e32 v10, vcc, v11, v13, vcc
	v_mov_b32_e32 v11, v6
	s_nop 0
	v_addc_co_u32_e32 v13, vcc, 0, v12, vcc
	v_mul_lo_u32 v12, v5, v7
	v_lshl_add_u64 v[10:11], v[10:11], 0, v[12:13]
	v_add_co_u32_e32 v1, vcc, v1, v10
	v_mul_hi_u32 v10, s2, v1
	s_nop 0
	v_addc_co_u32_e32 v5, vcc, v5, v11, vcc
	v_mul_lo_u32 v7, s2, v5
	v_add_u32_e32 v7, v10, v7
	v_mul_lo_u32 v10, s3, v1
	v_add_u32_e32 v7, v7, v10
	v_mul_lo_u32 v12, s2, v1
	v_mul_hi_u32 v15, v5, v12
	v_mul_lo_u32 v16, v5, v12
	v_mul_hi_u32 v11, v1, v7
	;; [unrolled: 2-line block ×3, first 2 shown]
	v_mov_b32_e32 v13, v6
	v_lshl_add_u64 v[10:11], v[12:13], 0, v[10:11]
	v_add_co_u32_e32 v10, vcc, v10, v16
	v_mul_hi_u32 v14, v5, v7
	s_nop 0
	v_addc_co_u32_e32 v10, vcc, v11, v15, vcc
	v_mul_lo_u32 v12, v5, v7
	s_nop 0
	v_addc_co_u32_e32 v13, vcc, 0, v14, vcc
	v_mov_b32_e32 v11, v6
	v_lshl_add_u64 v[10:11], v[10:11], 0, v[12:13]
	v_add_co_u32_e32 v1, vcc, v1, v10
	v_mul_hi_u32 v12, v8, v1
	s_nop 0
	v_addc_co_u32_e32 v5, vcc, v5, v11, vcc
	v_mad_u64_u32 v[10:11], s[2:3], v8, v5, 0
	v_mov_b32_e32 v13, v6
	v_lshl_add_u64 v[10:11], v[12:13], 0, v[10:11]
	v_mad_u64_u32 v[14:15], s[2:3], v9, v1, 0
	v_add_co_u32_e32 v1, vcc, v10, v14
	v_mad_u64_u32 v[12:13], s[2:3], v9, v5, 0
	s_nop 0
	v_addc_co_u32_e32 v10, vcc, v11, v15, vcc
	v_mov_b32_e32 v11, v6
	s_nop 0
	v_addc_co_u32_e32 v13, vcc, 0, v13, vcc
	v_lshl_add_u64 v[10:11], v[10:11], 0, v[12:13]
	v_mul_lo_u32 v1, s25, v10
	v_mul_lo_u32 v5, s24, v11
	v_mad_u64_u32 v[12:13], s[2:3], s24, v10, 0
	v_add3_u32 v1, v13, v5, v1
	v_sub_u32_e32 v5, v9, v1
	v_mov_b32_e32 v7, s25
	v_sub_co_u32_e32 v16, vcc, v8, v12
	v_lshl_add_u64 v[14:15], v[10:11], 0, 1
	s_nop 0
	v_subb_co_u32_e64 v5, s[2:3], v5, v7, vcc
	v_subrev_co_u32_e64 v7, s[2:3], s24, v16
	v_subb_co_u32_e32 v1, vcc, v9, v1, vcc
	s_nop 0
	v_subbrev_co_u32_e64 v5, s[2:3], 0, v5, s[2:3]
	v_cmp_le_u32_e64 s[2:3], s25, v5
	v_cmp_le_u32_e32 vcc, s25, v1
	s_nop 0
	v_cndmask_b32_e64 v12, 0, -1, s[2:3]
	v_cmp_le_u32_e64 s[2:3], s24, v7
	s_nop 1
	v_cndmask_b32_e64 v7, 0, -1, s[2:3]
	v_cmp_eq_u32_e64 s[2:3], s25, v5
	s_nop 1
	v_cndmask_b32_e64 v5, v12, v7, s[2:3]
	v_lshl_add_u64 v[12:13], v[10:11], 0, 2
	v_cmp_ne_u32_e64 s[2:3], 0, v5
	v_cndmask_b32_e64 v7, 0, -1, vcc
	v_cmp_le_u32_e32 vcc, s24, v16
	v_cndmask_b32_e64 v5, v15, v13, s[2:3]
	s_nop 0
	v_cndmask_b32_e64 v13, 0, -1, vcc
	v_cmp_eq_u32_e32 vcc, s25, v1
	s_nop 1
	v_cndmask_b32_e32 v1, v7, v13, vcc
	v_cmp_ne_u32_e32 vcc, 0, v1
	v_cndmask_b32_e64 v1, v14, v12, s[2:3]
	s_nop 0
	v_cndmask_b32_e32 v31, v11, v5, vcc
	v_cndmask_b32_e32 v30, v10, v1, vcc
.LBB0_4:                                ;   in Loop: Header=BB0_2 Depth=1
	s_andn2_saveexec_b64 s[2:3], s[26:27]
	s_cbranch_execz .LBB0_6
; %bb.5:                                ;   in Loop: Header=BB0_2 Depth=1
	v_cvt_f32_u32_e32 v1, s24
	s_sub_i32 s26, 0, s24
	v_mov_b32_e32 v31, v6
	v_rcp_iflag_f32_e32 v1, v1
	s_nop 0
	v_mul_f32_e32 v1, 0x4f7ffffe, v1
	v_cvt_u32_f32_e32 v1, v1
	v_mul_lo_u32 v5, s26, v1
	v_mul_hi_u32 v5, v1, v5
	v_add_u32_e32 v1, v1, v5
	v_mul_hi_u32 v1, v8, v1
	v_mul_lo_u32 v5, v1, s24
	v_sub_u32_e32 v5, v8, v5
	v_add_u32_e32 v7, 1, v1
	v_subrev_u32_e32 v10, s24, v5
	v_cmp_le_u32_e32 vcc, s24, v5
	s_nop 1
	v_cndmask_b32_e32 v5, v5, v10, vcc
	v_cndmask_b32_e32 v1, v1, v7, vcc
	v_add_u32_e32 v7, 1, v1
	v_cmp_le_u32_e32 vcc, s24, v5
	s_nop 1
	v_cndmask_b32_e32 v30, v1, v7, vcc
.LBB0_6:                                ;   in Loop: Header=BB0_2 Depth=1
	s_or_b64 exec, exec, s[2:3]
	v_mad_u64_u32 v[10:11], s[2:3], v30, s24, 0
	s_load_dwordx2 s[2:3], s[18:19], 0x0
	s_add_u32 s22, s22, 1
	v_mul_lo_u32 v1, v31, s24
	v_mul_lo_u32 v5, v30, s25
	s_load_dwordx2 s[24:25], s[16:17], 0x0
	s_addc_u32 s23, s23, 0
	v_add3_u32 v1, v11, v5, v1
	v_sub_co_u32_e32 v5, vcc, v8, v10
	s_add_u32 s16, s16, 8
	s_nop 0
	v_subb_co_u32_e32 v1, vcc, v9, v1, vcc
	s_addc_u32 s17, s17, 0
	s_waitcnt lgkmcnt(0)
	v_mul_lo_u32 v7, s2, v1
	v_mul_lo_u32 v8, s3, v5
	v_mad_u64_u32 v[2:3], s[2:3], s2, v5, v[2:3]
	s_add_u32 s18, s18, 8
	v_add3_u32 v3, v8, v3, v7
	s_addc_u32 s19, s19, 0
	v_mov_b64_e32 v[8:9], s[10:11]
	v_mul_lo_u32 v1, s24, v1
	v_mul_lo_u32 v7, s25, v5
	v_mad_u64_u32 v[28:29], s[2:3], s24, v5, v[28:29]
	s_add_u32 s20, s20, 8
	v_cmp_ge_u64_e32 vcc, s[22:23], v[8:9]
	v_add3_u32 v29, v7, v29, v1
	s_addc_u32 s21, s21, 0
	s_cbranch_vccnz .LBB0_8
; %bb.7:                                ;   in Loop: Header=BB0_2 Depth=1
	v_mov_b64_e32 v[8:9], v[30:31]
	s_branch .LBB0_2
.LBB0_8:
	s_load_dwordx2 s[18:19], s[0:1], 0x28
	s_mov_b32 s0, 0xaaaaaaab
	v_mul_hi_u32 v1, v4, s0
	s_lshl_b64 s[16:17], s[10:11], 3
	v_lshrrev_b32_e32 v1, 1, v1
	s_add_u32 s2, s14, s16
	v_lshl_add_u32 v1, v1, 1, v1
	s_addc_u32 s3, s15, s17
	v_sub_u32_e32 v1, v4, v1
	s_waitcnt lgkmcnt(0)
	v_cmp_gt_u64_e64 s[0:1], s[18:19], v[30:31]
	v_cmp_le_u64_e32 vcc, s[18:19], v[30:31]
                                        ; implicit-def: $vgpr32
	s_and_saveexec_b64 s[10:11], vcc
	s_xor_b64 s[10:11], exec, s[10:11]
; %bb.9:
	s_mov_b32 s14, 0x3483484
	v_mul_hi_u32 v2, v0, s14
	v_mul_u32_u24_e32 v2, 0x4e, v2
	v_sub_u32_e32 v32, v0, v2
                                        ; implicit-def: $vgpr0
                                        ; implicit-def: $vgpr2_vgpr3
; %bb.10:
	s_or_saveexec_b64 s[10:11], s[10:11]
	v_mul_u32_u24_e32 v1, 0x35b, v1
	v_lshlrev_b32_e32 v97, 3, v1
	s_xor_b64 exec, exec, s[10:11]
	s_cbranch_execz .LBB0_12
; %bb.11:
	s_add_u32 s12, s12, s16
	s_addc_u32 s13, s13, s17
	s_load_dwordx2 s[12:13], s[12:13], 0x0
	s_mov_b32 s14, 0x3483484
	s_waitcnt lgkmcnt(0)
	v_mul_lo_u32 v1, s13, v30
	v_mul_lo_u32 v6, s12, v31
	v_mad_u64_u32 v[4:5], s[12:13], s12, v30, 0
	v_add3_u32 v5, v5, v6, v1
	v_mul_hi_u32 v1, v0, s14
	v_mul_u32_u24_e32 v1, 0x4e, v1
	v_sub_u32_e32 v32, v0, v1
	v_lshl_add_u64 v[0:1], v[4:5], 3, s[4:5]
	v_lshl_add_u64 v[0:1], v[2:3], 3, v[0:1]
	v_lshlrev_b32_e32 v2, 3, v32
	v_mov_b32_e32 v3, 0
	v_lshl_add_u64 v[0:1], v[0:1], 0, v[2:3]
	v_add_co_u32_e32 v12, vcc, 0x1000, v0
	global_load_dwordx2 v[4:5], v[0:1], off
	global_load_dwordx2 v[6:7], v[0:1], off offset:624
	global_load_dwordx2 v[8:9], v[0:1], off offset:1248
	;; [unrolled: 1-line block ×3, first 2 shown]
	v_addc_co_u32_e32 v13, vcc, 0, v1, vcc
	global_load_dwordx2 v[14:15], v[0:1], off offset:2496
	global_load_dwordx2 v[16:17], v[0:1], off offset:3120
	;; [unrolled: 1-line block ×7, first 2 shown]
	v_add3_u32 v0, 0, v97, v2
	v_add_u32_e32 v1, 0x800, v0
	v_add_u32_e32 v2, 0xc00, v0
	;; [unrolled: 1-line block ×3, first 2 shown]
	s_waitcnt vmcnt(9)
	ds_write2_b64 v0, v[4:5], v[6:7] offset1:78
	s_waitcnt vmcnt(7)
	ds_write2_b64 v0, v[8:9], v[10:11] offset0:156 offset1:234
	s_waitcnt vmcnt(5)
	ds_write2_b64 v1, v[14:15], v[16:17] offset0:56 offset1:134
	;; [unrolled: 2-line block ×4, first 2 shown]
	s_waitcnt vmcnt(0)
	ds_write_b64 v0, v[26:27] offset:6240
.LBB0_12:
	s_or_b64 exec, exec, s[10:11]
	v_lshlrev_b32_e32 v33, 3, v32
	v_add_u32_e32 v82, 0, v33
	v_add_u32_e32 v92, 0, v97
	;; [unrolled: 1-line block ×5, first 2 shown]
	s_waitcnt lgkmcnt(0)
	s_barrier
	ds_read_b64 v[0:1], v93
	ds_read2_b64 v[4:7], v94 offset0:66 offset1:132
	ds_read2_b64 v[8:11], v2 offset0:86 offset1:152
	v_add_u32_e32 v95, 0x400, v94
	v_add_u32_e32 v98, 0x1000, v94
	ds_read2_b64 v[16:19], v95 offset0:70 offset1:136
	ds_read2_b64 v[12:15], v98 offset0:82 offset1:148
	s_waitcnt lgkmcnt(2)
	v_pk_add_f32 v[36:37], v[4:5], v[10:11] neg_lo:[0,1] neg_hi:[0,1]
	s_mov_b32 s26, 0xbf52af12
	v_pk_add_f32 v[34:35], v[10:11], v[4:5]
	s_mov_b32 s10, 0x3f116cb1
	v_pk_mul_f32 v[2:3], v[36:37], s[26:27] op_sel_hi:[1,0]
	v_pk_add_f32 v[40:41], v[6:7], v[8:9] neg_lo:[0,1] neg_hi:[0,1]
	s_mov_b32 s14, 0xbf6f5d39
	v_pk_fma_f32 v[58:59], v[34:35], s[10:11], v[2:3] op_sel:[0,0,1] op_sel_hi:[1,0,0] neg_lo:[0,0,1] neg_hi:[0,0,1]
	v_pk_fma_f32 v[60:61], v[34:35], s[10:11], v[2:3] op_sel:[0,0,1] op_sel_hi:[1,0,0]
	v_pk_add_f32 v[38:39], v[8:9], v[6:7]
	s_mov_b32 s12, 0xbeb58ec6
	v_pk_mul_f32 v[20:21], v[40:41], s[14:15] op_sel_hi:[1,0]
	v_mov_b32_e32 v2, v60
	v_mov_b32_e32 v3, v59
	v_pk_fma_f32 v[62:63], v[38:39], s[12:13], v[20:21] op_sel:[0,0,1] op_sel_hi:[1,0,0] neg_lo:[0,0,1] neg_hi:[0,0,1]
	v_pk_fma_f32 v[64:65], v[38:39], s[12:13], v[20:21] op_sel:[0,0,1] op_sel_hi:[1,0,0]
	v_pk_add_f32 v[2:3], v[0:1], v[2:3]
	v_mov_b32_e32 v20, v64
	v_mov_b32_e32 v21, v63
	s_waitcnt lgkmcnt(0)
	v_pk_add_f32 v[44:45], v[16:17], v[14:15] neg_lo:[0,1] neg_hi:[0,1]
	s_mov_b32 s24, 0xbe750f2a
	v_pk_add_f32 v[2:3], v[20:21], v[2:3]
	v_pk_add_f32 v[42:43], v[14:15], v[16:17]
	s_mov_b32 s20, 0xbf788fa5
	v_pk_mul_f32 v[20:21], v[44:45], s[24:25] op_sel_hi:[1,0]
	v_pk_add_f32 v[48:49], v[18:19], v[12:13] neg_lo:[0,1] neg_hi:[0,1]
	v_pk_fma_f32 v[66:67], v[42:43], s[20:21], v[20:21] op_sel:[0,0,1] op_sel_hi:[1,0,0] neg_lo:[0,0,1] neg_hi:[0,0,1]
	v_pk_fma_f32 v[68:69], v[42:43], s[20:21], v[20:21] op_sel:[0,0,1] op_sel_hi:[1,0,0]
	v_mov_b32_e32 v21, v67
	v_mov_b32_e32 v20, v68
	s_mov_b32 s34, 0x3f29c268
	v_pk_add_f32 v[2:3], v[20:21], v[2:3]
	v_pk_add_f32 v[46:47], v[12:13], v[18:19]
	s_mov_b32 s16, 0xbf3f9e67
	v_pk_mul_f32 v[20:21], v[48:49], s[34:35] op_sel_hi:[1,0]
	v_add_u32_e32 v96, 0xc00, v94
	v_pk_fma_f32 v[70:71], v[46:47], s[16:17], v[20:21] op_sel:[0,0,1] op_sel_hi:[1,0,0] neg_lo:[0,0,1] neg_hi:[0,0,1]
	v_pk_fma_f32 v[72:73], v[46:47], s[16:17], v[20:21] op_sel:[0,0,1] op_sel_hi:[1,0,0]
	v_add_u32_e32 v20, 0x800, v94
	ds_read2_b64 v[24:27], v20 offset0:74 offset1:140
	ds_read2_b64 v[20:23], v96 offset0:78 offset1:144
	v_mov_b32_e32 v50, v72
	v_mov_b32_e32 v51, v71
	s_mov_b32 s22, 0x3f7e222b
	v_pk_add_f32 v[2:3], v[50:51], v[2:3]
	s_waitcnt lgkmcnt(0)
	v_pk_add_f32 v[52:53], v[24:25], v[22:23] neg_lo:[0,1] neg_hi:[0,1]
	s_mov_b32 s18, 0x3df6dbef
	v_pk_add_f32 v[50:51], v[22:23], v[24:25]
	v_pk_mul_f32 v[54:55], v[52:53], s[22:23] op_sel_hi:[1,0]
	s_mov_b32 s30, 0x3eedf032
	v_pk_fma_f32 v[74:75], v[50:51], s[18:19], v[54:55] op_sel:[0,0,1] op_sel_hi:[1,0,0] neg_lo:[0,0,1] neg_hi:[0,0,1]
	v_pk_fma_f32 v[76:77], v[50:51], s[18:19], v[54:55] op_sel:[0,0,1] op_sel_hi:[1,0,0]
	v_mov_b32_e32 v55, v75
	v_mov_b32_e32 v54, v76
	v_pk_add_f32 v[56:57], v[26:27], v[20:21] neg_lo:[0,1] neg_hi:[0,1]
	v_pk_add_f32 v[2:3], v[54:55], v[2:3]
	s_mov_b32 s28, 0x3f62ad3f
	v_pk_add_f32 v[54:55], v[20:21], v[26:27]
	v_pk_mul_f32 v[80:81], v[56:57], s[30:31] op_sel_hi:[1,0]
	s_movk_i32 s4, 0x42
	v_pk_fma_f32 v[78:79], v[54:55], s[28:29], v[80:81] op_sel:[0,0,1] op_sel_hi:[1,0,0] neg_lo:[0,0,1] neg_hi:[0,0,1]
	v_pk_fma_f32 v[80:81], v[54:55], s[28:29], v[80:81] op_sel:[0,0,1] op_sel_hi:[1,0,0]
	v_mov_b32_e32 v85, v79
	v_mov_b32_e32 v84, v80
	v_pk_add_f32 v[2:3], v[84:85], v[2:3]
	v_cmp_gt_u32_e32 vcc, s4, v32
	s_barrier
	s_and_saveexec_b64 s[4:5], vcc
	s_cbranch_execz .LBB0_14
; %bb.13:
	v_pk_add_f32 v[4:5], v[0:1], v[4:5]
	s_mov_b32 s36, 0xbeedf032
	v_pk_add_f32 v[4:5], v[4:5], v[6:7]
	v_pk_mul_f32 v[6:7], v[36:37], s[36:37] op_sel_hi:[1,0]
	v_pk_add_f32 v[4:5], v[4:5], v[16:17]
	v_mov_b32_e32 v59, v61
	v_pk_add_f32 v[4:5], v[4:5], v[18:19]
	s_mov_b32 s38, 0xbf7e222b
	v_pk_add_f32 v[4:5], v[4:5], v[24:25]
	v_pk_add_f32 v[58:59], v[0:1], v[58:59]
	;; [unrolled: 1-line block ×3, first 2 shown]
	v_mov_b32_e32 v63, v65
	v_pk_add_f32 v[4:5], v[4:5], v[20:21]
	v_pk_add_f32 v[58:59], v[62:63], v[58:59]
	;; [unrolled: 1-line block ×3, first 2 shown]
	v_mov_b32_e32 v67, v69
	v_pk_add_f32 v[4:5], v[4:5], v[12:13]
	v_pk_mul_f32 v[60:61], v[36:37], s[38:39] op_sel_hi:[1,0]
	v_pk_add_f32 v[4:5], v[4:5], v[14:15]
	v_pk_add_f32 v[58:59], v[66:67], v[58:59]
	;; [unrolled: 1-line block ×3, first 2 shown]
	v_pk_fma_f32 v[62:63], v[34:35], s[18:19], v[60:61] op_sel:[0,0,1] op_sel_hi:[1,0,0] neg_lo:[0,0,1] neg_hi:[0,0,1]
	v_pk_add_f32 v[84:85], v[4:5], v[10:11]
	v_pk_fma_f32 v[4:5], v[34:35], s[28:29], v[6:7] op_sel:[0,0,1] op_sel_hi:[1,0,0] neg_lo:[0,0,1] neg_hi:[0,0,1]
	v_pk_fma_f32 v[6:7], v[34:35], s[28:29], v[6:7] op_sel:[0,0,1] op_sel_hi:[1,0,0]
	v_mov_b32_e32 v8, v4
	v_mov_b32_e32 v9, v7
	v_pk_mul_f32 v[10:11], v[40:41], s[26:27] op_sel_hi:[1,0]
	v_pk_add_f32 v[12:13], v[0:1], v[8:9]
	v_pk_fma_f32 v[8:9], v[38:39], s[10:11], v[10:11] op_sel:[0,0,1] op_sel_hi:[1,0,0] neg_lo:[0,0,1] neg_hi:[0,0,1]
	v_pk_fma_f32 v[10:11], v[38:39], s[10:11], v[10:11] op_sel:[0,0,1] op_sel_hi:[1,0,0]
	v_mov_b32_e32 v14, v8
	v_mov_b32_e32 v15, v11
	v_pk_add_f32 v[16:17], v[14:15], v[12:13]
	v_pk_mul_f32 v[14:15], v[44:45], s[38:39] op_sel_hi:[1,0]
	v_pk_fma_f32 v[60:61], v[34:35], s[18:19], v[60:61] op_sel:[0,0,1] op_sel_hi:[1,0,0]
	v_pk_mul_f32 v[66:67], v[40:41], s[24:25] op_sel_hi:[1,0]
	v_pk_fma_f32 v[12:13], v[42:43], s[18:19], v[14:15] op_sel:[0,0,1] op_sel_hi:[1,0,0] neg_lo:[0,0,1] neg_hi:[0,0,1]
	v_pk_fma_f32 v[14:15], v[42:43], s[18:19], v[14:15] op_sel:[0,0,1] op_sel_hi:[1,0,0]
	v_mov_b32_e32 v71, v73
	v_mov_b32_e32 v64, v62
	;; [unrolled: 1-line block ×3, first 2 shown]
	v_pk_fma_f32 v[68:69], v[38:39], s[20:21], v[66:67] op_sel:[0,0,1] op_sel_hi:[1,0,0] neg_lo:[0,0,1] neg_hi:[0,0,1]
	v_pk_fma_f32 v[66:67], v[38:39], s[20:21], v[66:67] op_sel:[0,0,1] op_sel_hi:[1,0,0]
	v_mov_b32_e32 v18, v12
	v_mov_b32_e32 v19, v15
	v_pk_add_f32 v[58:59], v[70:71], v[58:59]
	v_pk_add_f32 v[64:65], v[0:1], v[64:65]
	v_mov_b32_e32 v70, v68
	v_mov_b32_e32 v71, v67
	s_mov_b32 s40, 0x3f6f5d39
	v_pk_add_f32 v[20:21], v[18:19], v[16:17]
	v_pk_mul_f32 v[18:19], v[48:49], s[14:15] op_sel_hi:[1,0]
	v_pk_add_f32 v[64:65], v[70:71], v[64:65]
	v_pk_mul_f32 v[70:71], v[44:45], s[40:41] op_sel_hi:[1,0]
	v_pk_fma_f32 v[16:17], v[46:47], s[12:13], v[18:19] op_sel:[0,0,1] op_sel_hi:[1,0,0] neg_lo:[0,0,1] neg_hi:[0,0,1]
	v_pk_fma_f32 v[18:19], v[46:47], s[12:13], v[18:19] op_sel:[0,0,1] op_sel_hi:[1,0,0]
	v_mov_b32_e32 v75, v77
	v_pk_fma_f32 v[72:73], v[42:43], s[12:13], v[70:71] op_sel:[0,0,1] op_sel_hi:[1,0,0] neg_lo:[0,0,1] neg_hi:[0,0,1]
	v_pk_fma_f32 v[70:71], v[42:43], s[12:13], v[70:71] op_sel:[0,0,1] op_sel_hi:[1,0,0]
	v_mov_b32_e32 v22, v16
	v_mov_b32_e32 v23, v19
	s_mov_b32 s36, 0xbf29c268
	v_pk_add_f32 v[58:59], v[74:75], v[58:59]
	v_mov_b32_e32 v74, v72
	v_mov_b32_e32 v75, v71
	v_pk_add_f32 v[24:25], v[22:23], v[20:21]
	v_pk_mul_f32 v[22:23], v[52:53], s[36:37] op_sel_hi:[1,0]
	v_pk_add_f32 v[64:65], v[74:75], v[64:65]
	v_pk_mul_f32 v[74:75], v[48:49], s[30:31] op_sel_hi:[1,0]
	v_pk_fma_f32 v[20:21], v[50:51], s[16:17], v[22:23] op_sel:[0,0,1] op_sel_hi:[1,0,0] neg_lo:[0,0,1] neg_hi:[0,0,1]
	v_pk_fma_f32 v[22:23], v[50:51], s[16:17], v[22:23] op_sel:[0,0,1] op_sel_hi:[1,0,0]
	v_mov_b32_e32 v79, v81
	v_pk_fma_f32 v[76:77], v[46:47], s[28:29], v[74:75] op_sel:[0,0,1] op_sel_hi:[1,0,0] neg_lo:[0,0,1] neg_hi:[0,0,1]
	v_pk_fma_f32 v[74:75], v[46:47], s[28:29], v[74:75] op_sel:[0,0,1] op_sel_hi:[1,0,0]
	v_mov_b32_e32 v26, v20
	v_mov_b32_e32 v27, v23
	v_pk_add_f32 v[58:59], v[78:79], v[58:59]
	v_mov_b32_e32 v78, v76
	v_mov_b32_e32 v79, v75
	v_pk_add_f32 v[86:87], v[26:27], v[24:25]
	v_pk_mul_f32 v[26:27], v[56:57], s[24:25] op_sel_hi:[1,0]
	v_pk_add_f32 v[64:65], v[78:79], v[64:65]
	v_pk_mul_f32 v[78:79], v[52:53], s[26:27] op_sel_hi:[1,0]
	v_pk_fma_f32 v[24:25], v[54:55], s[20:21], v[26:27] op_sel:[0,0,1] op_sel_hi:[1,0,0] neg_lo:[0,0,1] neg_hi:[0,0,1]
	v_pk_fma_f32 v[26:27], v[54:55], s[20:21], v[26:27] op_sel:[0,0,1] op_sel_hi:[1,0,0]
	v_mul_u32_u24_e32 v4, 0x60, v32
	v_pk_fma_f32 v[80:81], v[50:51], s[10:11], v[78:79] op_sel:[0,0,1] op_sel_hi:[1,0,0] neg_lo:[0,0,1] neg_hi:[0,0,1]
	v_pk_fma_f32 v[78:79], v[50:51], s[10:11], v[78:79] op_sel:[0,0,1] op_sel_hi:[1,0,0]
	v_mov_b32_e32 v88, v24
	v_mov_b32_e32 v89, v27
	v_add3_u32 v4, v82, v4, v97
	v_mov_b32_e32 v82, v80
	v_mov_b32_e32 v83, v79
	v_pk_add_f32 v[86:87], v[88:89], v[86:87]
	v_pk_add_f32 v[64:65], v[82:83], v[64:65]
	v_pk_mul_f32 v[82:83], v[56:57], s[36:37] op_sel_hi:[1,0]
	ds_write2_b64 v4, v[84:85], v[86:87] offset1:1
	v_pk_fma_f32 v[84:85], v[54:55], s[16:17], v[82:83] op_sel:[0,0,1] op_sel_hi:[1,0,0] neg_lo:[0,0,1] neg_hi:[0,0,1]
	v_pk_fma_f32 v[82:83], v[54:55], s[16:17], v[82:83] op_sel:[0,0,1] op_sel_hi:[1,0,0]
	v_mov_b32_e32 v86, v84
	v_mov_b32_e32 v87, v83
	v_pk_add_f32 v[64:65], v[86:87], v[64:65]
	ds_write2_b64 v4, v[58:59], v[64:65] offset0:2 offset1:3
	v_pk_mul_f32 v[58:59], v[36:37], s[14:15] op_sel_hi:[1,0]
	v_pk_mul_f32 v[88:89], v[40:41], s[34:35] op_sel_hi:[1,0]
	v_pk_fma_f32 v[64:65], v[34:35], s[12:13], v[58:59] op_sel:[0,0,1] op_sel_hi:[1,0,0] neg_lo:[0,0,1] neg_hi:[0,0,1]
	v_pk_fma_f32 v[58:59], v[34:35], s[12:13], v[58:59] op_sel:[0,0,1] op_sel_hi:[1,0,0]
	v_mov_b32_e32 v86, v64
	v_mov_b32_e32 v87, v59
	v_pk_fma_f32 v[90:91], v[38:39], s[16:17], v[88:89] op_sel:[0,0,1] op_sel_hi:[1,0,0] neg_lo:[0,0,1] neg_hi:[0,0,1]
	v_pk_fma_f32 v[88:89], v[38:39], s[16:17], v[88:89] op_sel:[0,0,1] op_sel_hi:[1,0,0]
	v_pk_add_f32 v[86:87], v[0:1], v[86:87]
	v_mov_b32_e32 v100, v90
	v_mov_b32_e32 v101, v89
	v_pk_add_f32 v[86:87], v[100:101], v[86:87]
	v_pk_mul_f32 v[100:101], v[44:45], s[30:31] op_sel_hi:[1,0]
	s_mov_b32 s34, 0x3e750f2a
	v_pk_fma_f32 v[102:103], v[42:43], s[28:29], v[100:101] op_sel:[0,0,1] op_sel_hi:[1,0,0] neg_lo:[0,0,1] neg_hi:[0,0,1]
	v_pk_fma_f32 v[100:101], v[42:43], s[28:29], v[100:101] op_sel:[0,0,1] op_sel_hi:[1,0,0]
	v_mov_b32_e32 v104, v102
	v_mov_b32_e32 v105, v101
	v_pk_add_f32 v[86:87], v[104:105], v[86:87]
	v_pk_mul_f32 v[104:105], v[48:49], s[38:39] op_sel_hi:[1,0]
	s_mov_b32 s38, 0x3f52af12
	v_pk_fma_f32 v[106:107], v[46:47], s[18:19], v[104:105] op_sel:[0,0,1] op_sel_hi:[1,0,0] neg_lo:[0,0,1] neg_hi:[0,0,1]
	v_pk_fma_f32 v[104:105], v[46:47], s[18:19], v[104:105] op_sel:[0,0,1] op_sel_hi:[1,0,0]
	v_mov_b32_e32 v108, v106
	v_mov_b32_e32 v109, v105
	v_pk_add_f32 v[86:87], v[108:109], v[86:87]
	v_pk_mul_f32 v[108:109], v[52:53], s[34:35] op_sel_hi:[1,0]
	v_pk_mul_f32 v[122:123], v[40:41], s[22:23] op_sel_hi:[1,0]
	v_pk_fma_f32 v[110:111], v[50:51], s[20:21], v[108:109] op_sel:[0,0,1] op_sel_hi:[1,0,0] neg_lo:[0,0,1] neg_hi:[0,0,1]
	v_pk_fma_f32 v[108:109], v[50:51], s[20:21], v[108:109] op_sel:[0,0,1] op_sel_hi:[1,0,0]
	v_mov_b32_e32 v112, v110
	v_mov_b32_e32 v113, v109
	v_pk_add_f32 v[86:87], v[112:113], v[86:87]
	v_pk_mul_f32 v[112:113], v[56:57], s[38:39] op_sel_hi:[1,0]
	v_pk_fma_f32 v[124:125], v[38:39], s[18:19], v[122:123] op_sel:[0,0,1] op_sel_hi:[1,0,0] neg_lo:[0,0,1] neg_hi:[0,0,1]
	v_pk_fma_f32 v[114:115], v[54:55], s[10:11], v[112:113] op_sel:[0,0,1] op_sel_hi:[1,0,0] neg_lo:[0,0,1] neg_hi:[0,0,1]
	v_pk_fma_f32 v[112:113], v[54:55], s[10:11], v[112:113] op_sel:[0,0,1] op_sel_hi:[1,0,0]
	v_mov_b32_e32 v116, v114
	v_mov_b32_e32 v117, v113
	v_pk_add_f32 v[86:87], v[116:117], v[86:87]
	v_pk_mul_f32 v[116:117], v[36:37], s[36:37] op_sel_hi:[1,0]
	v_pk_fma_f32 v[122:123], v[38:39], s[18:19], v[122:123] op_sel:[0,0,1] op_sel_hi:[1,0,0]
	v_pk_fma_f32 v[118:119], v[34:35], s[16:17], v[116:117] op_sel:[0,0,1] op_sel_hi:[1,0,0] neg_lo:[0,0,1] neg_hi:[0,0,1]
	v_pk_fma_f32 v[116:117], v[34:35], s[16:17], v[116:117] op_sel:[0,0,1] op_sel_hi:[1,0,0]
	v_mov_b32_e32 v120, v118
	v_mov_b32_e32 v121, v117
	v_pk_add_f32 v[120:121], v[0:1], v[120:121]
	v_mov_b32_e32 v126, v124
	v_mov_b32_e32 v127, v123
	v_pk_add_f32 v[120:121], v[126:127], v[120:121]
	v_pk_mul_f32 v[126:127], v[44:45], s[26:27] op_sel_hi:[1,0]
	v_pk_mul_f32 v[36:37], v[36:37], s[24:25] op_sel_hi:[1,0]
	v_pk_fma_f32 v[128:129], v[42:43], s[10:11], v[126:127] op_sel:[0,0,1] op_sel_hi:[1,0,0] neg_lo:[0,0,1] neg_hi:[0,0,1]
	v_pk_fma_f32 v[126:127], v[42:43], s[10:11], v[126:127] op_sel:[0,0,1] op_sel_hi:[1,0,0]
	v_mov_b32_e32 v130, v128
	v_mov_b32_e32 v131, v127
	v_pk_add_f32 v[120:121], v[130:131], v[120:121]
	v_pk_mul_f32 v[130:131], v[48:49], s[34:35] op_sel_hi:[1,0]
	v_pk_mul_f32 v[44:45], v[44:45], s[36:37] op_sel_hi:[1,0]
	v_pk_fma_f32 v[132:133], v[46:47], s[20:21], v[130:131] op_sel:[0,0,1] op_sel_hi:[1,0,0] neg_lo:[0,0,1] neg_hi:[0,0,1]
	v_pk_fma_f32 v[130:131], v[46:47], s[20:21], v[130:131] op_sel:[0,0,1] op_sel_hi:[1,0,0]
	v_mov_b32_e32 v134, v132
	v_mov_b32_e32 v135, v131
	v_pk_add_f32 v[120:121], v[134:135], v[120:121]
	v_pk_mul_f32 v[134:135], v[52:53], s[30:31] op_sel_hi:[1,0]
	v_mov_b32_e32 v117, v119
	v_pk_fma_f32 v[136:137], v[50:51], s[28:29], v[134:135] op_sel:[0,0,1] op_sel_hi:[1,0,0] neg_lo:[0,0,1] neg_hi:[0,0,1]
	v_pk_fma_f32 v[134:135], v[50:51], s[28:29], v[134:135] op_sel:[0,0,1] op_sel_hi:[1,0,0]
	v_mov_b32_e32 v138, v136
	v_mov_b32_e32 v139, v135
	v_pk_add_f32 v[120:121], v[138:139], v[120:121]
	v_pk_mul_f32 v[138:139], v[56:57], s[14:15] op_sel_hi:[1,0]
	v_mov_b32_e32 v59, v65
	v_pk_fma_f32 v[140:141], v[54:55], s[12:13], v[138:139] op_sel:[0,0,1] op_sel_hi:[1,0,0] neg_lo:[0,0,1] neg_hi:[0,0,1]
	v_pk_fma_f32 v[138:139], v[54:55], s[12:13], v[138:139] op_sel:[0,0,1] op_sel_hi:[1,0,0]
	v_mov_b32_e32 v142, v140
	v_mov_b32_e32 v143, v139
	v_pk_add_f32 v[120:121], v[142:143], v[120:121]
	ds_write2_b64 v4, v[86:87], v[120:121] offset0:4 offset1:5
	v_pk_fma_f32 v[86:87], v[34:35], s[20:21], v[36:37] op_sel:[0,0,1] op_sel_hi:[1,0,0] neg_lo:[0,0,1] neg_hi:[0,0,1]
	v_pk_fma_f32 v[34:35], v[34:35], s[20:21], v[36:37] op_sel:[0,0,1] op_sel_hi:[1,0,0]
	v_pk_mul_f32 v[36:37], v[40:41], s[30:31] op_sel_hi:[1,0]
	v_mov_b32_e32 v123, v125
	v_pk_fma_f32 v[40:41], v[38:39], s[28:29], v[36:37] op_sel:[0,0,1] op_sel_hi:[1,0,0] neg_lo:[0,0,1] neg_hi:[0,0,1]
	v_pk_fma_f32 v[36:37], v[38:39], s[28:29], v[36:37] op_sel:[0,0,1] op_sel_hi:[1,0,0]
	v_mov_b32_e32 v38, v86
	v_mov_b32_e32 v39, v35
	v_pk_add_f32 v[38:39], v[0:1], v[38:39]
	v_mov_b32_e32 v120, v40
	v_mov_b32_e32 v121, v37
	v_pk_add_f32 v[38:39], v[120:121], v[38:39]
	v_pk_fma_f32 v[120:121], v[42:43], s[16:17], v[44:45] op_sel:[0,0,1] op_sel_hi:[1,0,0] neg_lo:[0,0,1] neg_hi:[0,0,1]
	v_pk_fma_f32 v[42:43], v[42:43], s[16:17], v[44:45] op_sel:[0,0,1] op_sel_hi:[1,0,0]
	v_mov_b32_e32 v44, v120
	v_mov_b32_e32 v45, v43
	v_pk_add_f32 v[38:39], v[44:45], v[38:39]
	v_pk_mul_f32 v[44:45], v[48:49], s[38:39] op_sel_hi:[1,0]
	v_mov_b32_e32 v35, v87
	v_pk_fma_f32 v[48:49], v[46:47], s[10:11], v[44:45] op_sel:[0,0,1] op_sel_hi:[1,0,0] neg_lo:[0,0,1] neg_hi:[0,0,1]
	v_pk_fma_f32 v[44:45], v[46:47], s[10:11], v[44:45] op_sel:[0,0,1] op_sel_hi:[1,0,0]
	v_mov_b32_e32 v46, v48
	v_mov_b32_e32 v47, v45
	v_pk_add_f32 v[38:39], v[46:47], v[38:39]
	v_pk_mul_f32 v[46:47], v[52:53], s[14:15] op_sel_hi:[1,0]
	v_mov_b32_e32 v37, v41
	v_pk_fma_f32 v[52:53], v[50:51], s[12:13], v[46:47] op_sel:[0,0,1] op_sel_hi:[1,0,0] neg_lo:[0,0,1] neg_hi:[0,0,1]
	v_pk_fma_f32 v[46:47], v[50:51], s[12:13], v[46:47] op_sel:[0,0,1] op_sel_hi:[1,0,0]
	v_pk_add_f32 v[34:35], v[0:1], v[34:35]
	v_mov_b32_e32 v50, v52
	v_mov_b32_e32 v51, v47
	v_pk_add_f32 v[34:35], v[36:37], v[34:35]
	v_mov_b32_e32 v43, v121
	v_pk_add_f32 v[38:39], v[50:51], v[38:39]
	v_pk_mul_f32 v[50:51], v[56:57], s[22:23] op_sel_hi:[1,0]
	v_pk_add_f32 v[34:35], v[42:43], v[34:35]
	v_mov_b32_e32 v45, v49
	v_pk_fma_f32 v[56:57], v[54:55], s[18:19], v[50:51] op_sel:[0,0,1] op_sel_hi:[1,0,0] neg_lo:[0,0,1] neg_hi:[0,0,1]
	v_pk_fma_f32 v[50:51], v[54:55], s[18:19], v[50:51] op_sel:[0,0,1] op_sel_hi:[1,0,0]
	v_pk_add_f32 v[34:35], v[44:45], v[34:35]
	v_mov_b32_e32 v47, v53
	v_mov_b32_e32 v54, v56
	;; [unrolled: 1-line block ×3, first 2 shown]
	v_pk_add_f32 v[34:35], v[46:47], v[34:35]
	v_mov_b32_e32 v51, v57
	v_pk_add_f32 v[38:39], v[54:55], v[38:39]
	v_pk_add_f32 v[34:35], v[50:51], v[34:35]
	ds_write2_b64 v4, v[38:39], v[34:35] offset0:6 offset1:7
	v_pk_add_f32 v[34:35], v[0:1], v[116:117]
	v_pk_add_f32 v[36:37], v[0:1], v[58:59]
	v_mov_b32_e32 v89, v91
	v_pk_add_f32 v[34:35], v[122:123], v[34:35]
	v_mov_b32_e32 v127, v129
	;; [unrolled: 2-line block ×9, first 2 shown]
	v_pk_add_f32 v[34:35], v[138:139], v[34:35]
	v_pk_add_f32 v[36:37], v[112:113], v[36:37]
	v_mov_b32_e32 v61, v63
	v_mov_b32_e32 v7, v5
	ds_write2_b64 v4, v[34:35], v[36:37] offset0:8 offset1:9
	v_pk_add_f32 v[34:35], v[0:1], v[60:61]
	v_mov_b32_e32 v67, v69
	v_pk_add_f32 v[0:1], v[0:1], v[6:7]
	v_mov_b32_e32 v11, v9
	;; [unrolled: 2-line block ×10, first 2 shown]
	v_pk_add_f32 v[34:35], v[82:83], v[34:35]
	v_pk_add_f32 v[0:1], v[26:27], v[0:1]
	ds_write2_b64 v4, v[34:35], v[2:3] offset0:10 offset1:11
	ds_write_b64 v4, v[0:1] offset:96
.LBB0_14:
	s_or_b64 exec, exec, s[4:5]
	s_movk_i32 s4, 0x4f
	v_mul_lo_u16_sdwa v0, v32, s4 dst_sel:DWORD dst_unused:UNUSED_PAD src0_sel:BYTE_0 src1_sel:DWORD
	v_lshrrev_b16_e32 v99, 10, v0
	v_mul_lo_u16_e32 v0, 13, v99
	v_sub_u16_e32 v120, v32, v0
	v_mov_b32_e32 v0, 10
	v_mul_u32_u24_sdwa v0, v120, v0 dst_sel:DWORD dst_unused:UNUSED_PAD src0_sel:BYTE_0 src1_sel:DWORD
	v_lshlrev_b32_e32 v0, 3, v0
	s_load_dwordx2 s[2:3], s[2:3], 0x0
	s_waitcnt lgkmcnt(0)
	s_barrier
	global_load_dwordx4 v[12:15], v0, s[8:9] offset:16
	global_load_dwordx4 v[36:39], v0, s[8:9] offset:32
	;; [unrolled: 1-line block ×3, first 2 shown]
	global_load_dwordx4 v[20:23], v0, s[8:9]
	global_load_dwordx4 v[8:11], v0, s[8:9] offset:64
	ds_read2_b64 v[24:27], v94 offset0:78 offset1:156
	ds_read2_b64 v[16:19], v95 offset0:106 offset1:184
	ds_read2_b32 v[0:1], v96 offset0:12 offset1:13
	ds_read2_b64 v[40:43], v96 offset0:84 offset1:162
	ds_read_b64 v[34:35], v93
	ds_read_b64 v[44:45], v94 offset:6240
	s_mov_b32 s20, 0xbe11bafb
	s_mov_b32 s21, 0xbf7d64f0
	s_waitcnt lgkmcnt(3)
	v_mov_b32_e32 v46, v1
	s_mov_b32 s13, 0x3f575c64
	s_mov_b32 s12, 0xbf0a6770
	;; [unrolled: 1-line block ×14, first 2 shown]
	s_waitcnt vmcnt(4)
	v_mov_b32_e32 v48, v15
	v_mov_b32_e32 v49, v14
	s_waitcnt vmcnt(2) lgkmcnt(2)
	v_pk_mul_f32 v[52:53], v[42:43], v[4:5] op_sel:[0,1]
	s_waitcnt vmcnt(1)
	v_pk_mul_f32 v[54:55], v[20:21], v[24:25] op_sel:[0,1]
	s_waitcnt vmcnt(0)
	v_mov_b32_e32 v56, v11
	v_pk_mul_f32 v[46:47], v[46:47], v[36:37] op_sel_hi:[0,1]
	v_mov_b32_e32 v50, v39
	v_pk_mul_f32 v[48:49], v[48:49], v[18:19] op_sel:[0,1]
	v_pk_fma_f32 v[68:69], v[42:43], v[4:5], v[52:53] op_sel:[0,0,1] op_sel_hi:[1,1,0] neg_lo:[0,0,1] neg_hi:[0,0,1]
	v_pk_fma_f32 v[4:5], v[42:43], v[4:5], v[52:53] op_sel:[0,0,1] op_sel_hi:[1,0,0]
	v_pk_fma_f32 v[42:43], v[20:21], v[24:25], v[54:55] op_sel:[0,0,1] op_sel_hi:[1,0,0]
	v_pk_fma_f32 v[78:79], v[20:21], v[24:25], v[54:55] op_sel:[0,0,1] op_sel_hi:[1,0,0] neg_lo:[0,0,1] neg_hi:[0,0,1]
	s_waitcnt lgkmcnt(0)
	v_pk_mul_f32 v[20:21], v[44:45], v[56:57] op_sel_hi:[1,0]
	v_pk_fma_f32 v[66:67], v[36:37], v[0:1], v[46:47] op_sel:[0,0,1] op_sel_hi:[1,1,0] neg_lo:[0,0,1] neg_hi:[0,0,1]
	v_pk_fma_f32 v[0:1], v[36:37], v[0:1], v[46:47] op_sel:[0,0,1] op_sel_hi:[1,0,0]
	v_pk_mul_f32 v[36:37], v[40:41], v[50:51] op_sel_hi:[1,0]
	v_pk_fma_f32 v[76:77], v[14:15], v[18:19], v[48:49] neg_lo:[0,0,1] neg_hi:[0,0,1]
	v_pk_fma_f32 v[14:15], v[14:15], v[18:19], v[48:49] op_sel_hi:[1,0,1]
	v_mov_b32_e32 v69, v5
	v_pk_fma_f32 v[4:5], v[44:45], v[10:11], v[20:21] op_sel:[0,0,1] op_sel_hi:[1,0,0]
	v_pk_fma_f32 v[74:75], v[44:45], v[10:11], v[20:21] op_sel:[0,0,1] op_sel_hi:[1,0,0] neg_lo:[0,0,1] neg_hi:[0,0,1]
	v_mov_b32_e32 v67, v1
	v_pk_fma_f32 v[80:81], v[40:41], v[38:39], v[36:37] op_sel:[0,0,1] op_sel_hi:[1,1,0] neg_lo:[0,0,1] neg_hi:[0,0,1]
	v_pk_fma_f32 v[0:1], v[40:41], v[38:39], v[36:37] op_sel:[0,0,1] op_sel_hi:[1,0,0]
	v_mov_b32_e32 v79, v43
	v_mov_b32_e32 v77, v15
	;; [unrolled: 1-line block ×4, first 2 shown]
	v_pk_add_f32 v[4:5], v[76:77], v[68:69]
	v_pk_add_f32 v[0:1], v[76:77], v[68:69] neg_lo:[0,1] neg_hi:[0,1]
	v_pk_add_f32 v[56:57], v[78:79], v[74:75]
	v_pk_add_f32 v[58:59], v[78:79], v[74:75] neg_lo:[0,1] neg_hi:[0,1]
	v_mov_b32_e32 v14, v0
	v_mov_b32_e32 v15, v5
	;; [unrolled: 1-line block ×4, first 2 shown]
	v_pk_mul_f32 v[10:11], v[0:1], s[16:17] op_sel:[1,0] op_sel_hi:[0,0]
	v_pk_mul_f32 v[18:19], v[58:59], s[12:13] op_sel:[1,0] op_sel_hi:[0,0]
	v_pk_mul_f32 v[40:41], v[14:15], s[12:13]
	v_pk_mul_f32 v[42:43], v[20:21], s[18:19]
	v_mov_b32_e32 v38, v56
	v_mov_b32_e32 v39, v59
	v_pk_fma_f32 v[36:37], v[4:5], s[4:5], v[10:11] op_sel_hi:[1,0,1]
	v_pk_fma_f32 v[24:25], v[4:5], s[4:5], v[10:11] op_sel_hi:[1,0,1] neg_lo:[0,0,1] neg_hi:[0,0,1]
	v_pk_fma_f32 v[10:11], v[56:57], s[14:15], v[18:19] op_sel_hi:[1,0,1] neg_lo:[0,0,1] neg_hi:[0,0,1]
	v_mov_b32_e32 v41, v40
	v_mov_b32_e32 v40, v43
	;; [unrolled: 1-line block ×4, first 2 shown]
	v_pk_fma_f32 v[42:43], v[14:15], s[12:13], v[40:41]
	v_pk_fma_f32 v[14:15], v[14:15], s[12:13], v[40:41] neg_lo:[0,0,1] neg_hi:[0,0,1]
	v_pk_fma_f32 v[86:87], v[20:21], s[18:19], v[40:41]
	v_pk_mul_f32 v[40:41], v[38:39], s[10:11]
	v_pk_add_f32 v[102:103], v[66:67], v[80:81] neg_lo:[0,1] neg_hi:[0,1]
	v_mov_b32_e32 v14, v41
	v_mov_b32_e32 v40, v57
	;; [unrolled: 1-line block ×3, first 2 shown]
	v_pk_fma_f32 v[20:21], v[20:21], s[18:19], v[10:11] neg_lo:[0,0,1] neg_hi:[0,0,1]
	v_pk_mul_f32 v[46:47], v[40:41], s[10:11]
	s_mov_b32 s18, 0xbf75a155
	v_pk_mul_f32 v[54:55], v[0:1], s[22:23] op_sel:[1,0] op_sel_hi:[0,0]
	v_pk_add_f32 v[100:101], v[66:67], v[80:81]
	v_pk_fma_f32 v[72:73], v[56:57], s[14:15], v[18:19] op_sel_hi:[1,0,1]
	v_mov_b32_e32 v11, v46
	s_mov_b32 s19, 0x3e903f40
	v_pk_mul_f32 v[46:47], v[58:59], s[30:31] op_sel:[1,0] op_sel_hi:[0,0]
	v_pk_fma_f32 v[82:83], v[4:5], s[10:11], v[54:55] op_sel_hi:[1,0,1] neg_lo:[0,0,1] neg_hi:[0,0,1]
	v_pk_fma_f32 v[88:89], v[4:5], s[10:11], v[54:55] op_sel_hi:[1,0,1]
	v_pk_mul_f32 v[54:55], v[102:103], s[30:31] op_sel:[1,0] op_sel_hi:[0,0]
	v_pk_mul_f32 v[60:61], v[0:1], s[26:27] op_sel:[1,0] op_sel_hi:[0,0]
	;; [unrolled: 1-line block ×3, first 2 shown]
	v_mov_b32_e32 v44, v72
	v_pk_fma_f32 v[84:85], v[100:101], s[18:19], v[54:55] op_sel_hi:[1,0,1] neg_lo:[0,0,1] neg_hi:[0,0,1]
	v_pk_fma_f32 v[90:91], v[100:101], s[18:19], v[54:55] op_sel_hi:[1,0,1]
	v_pk_fma_f32 v[54:55], v[4:5], s[20:21], v[60:61] op_sel_hi:[1,0,1] neg_lo:[0,0,1] neg_hi:[0,0,1]
	v_pk_fma_f32 v[62:63], v[4:5], s[20:21], v[60:61] op_sel_hi:[1,0,1]
	;; [unrolled: 2-line block ×3, first 2 shown]
	v_pk_mul_f32 v[58:59], v[102:103], s[24:25] op_sel:[1,0] op_sel_hi:[0,0]
	v_mov_b32_e32 v110, v23
	v_mov_b32_e32 v111, v22
	s_mov_b32 s17, s30
	s_mov_b32 s30, s21
	v_pk_add_f32 v[104:105], v[44:45], v[34:35]
	v_pk_fma_f32 v[44:45], v[56:57], s[18:19], v[46:47] op_sel_hi:[1,0,1]
	v_pk_fma_f32 v[46:47], v[56:57], s[18:19], v[46:47] op_sel_hi:[1,0,1] neg_lo:[0,0,1] neg_hi:[0,0,1]
	v_pk_fma_f32 v[56:57], v[100:101], s[14:15], v[58:59] op_sel_hi:[1,0,1] neg_lo:[0,0,1] neg_hi:[0,0,1]
	v_pk_fma_f32 v[70:71], v[100:101], s[14:15], v[58:59] op_sel_hi:[1,0,1]
	v_pk_mul_f32 v[110:111], v[110:111], v[26:27] op_sel:[0,1]
	v_mov_b32_e32 v117, v1
	v_mov_b32_e32 v119, v0
	v_pk_mul_f32 v[0:1], v[102:103], s[30:31] op_sel:[1,0] op_sel_hi:[0,0]
	s_movk_i32 s15, 0x478
	v_mov_b32_e32 v58, v101
	v_pk_fma_f32 v[112:113], v[22:23], v[26:27], v[110:111] neg_lo:[0,0,1] neg_hi:[0,0,1]
	v_pk_fma_f32 v[110:111], v[22:23], v[26:27], v[110:111] op_sel_hi:[1,0,1]
	v_mov_b32_e32 v114, v100
	v_mov_b32_e32 v115, v4
	;; [unrolled: 1-line block ×3, first 2 shown]
	v_pk_fma_f32 v[26:27], v[100:101], s[20:21], v[0:1] op_sel_hi:[1,0,1]
	v_pk_fma_f32 v[22:23], v[100:101], s[20:21], v[0:1] op_sel_hi:[1,0,1] neg_lo:[0,0,1] neg_hi:[0,0,1]
	v_mad_u32_u24 v0, v99, s15, 0
	v_mov_b32_e32 v1, 3
	ds_read2_b64 v[98:101], v98 offset0:112 offset1:190
	v_lshlrev_b32_sdwa v1, v1, v120 dst_sel:DWORD dst_unused:UNUSED_PAD src0_sel:DWORD src1_sel:BYTE_0
	v_add3_u32 v20, v0, v1, v97
	v_pk_mul_f32 v[0:1], v[12:13], v[16:17] op_sel:[0,1]
	v_mov_b32_e32 v59, v102
	v_mov_b32_e32 v116, v103
	;; [unrolled: 1-line block ×3, first 2 shown]
	v_pk_fma_f32 v[102:103], v[12:13], v[16:17], v[0:1] op_sel:[0,0,1] op_sel_hi:[1,1,0] neg_lo:[0,0,1] neg_hi:[0,0,1]
	v_pk_fma_f32 v[0:1], v[12:13], v[16:17], v[0:1] op_sel:[0,0,1] op_sel_hi:[1,0,0]
	v_mov_b32_e32 v113, v111
	v_mov_b32_e32 v0, v7
	;; [unrolled: 1-line block ×3, first 2 shown]
	s_waitcnt lgkmcnt(0)
	v_pk_mul_f32 v[0:1], v[98:99], v[0:1] op_sel_hi:[1,0]
	s_mov_b32 s5, s18
	v_pk_fma_f32 v[12:13], v[98:99], v[6:7], v[0:1] op_sel:[0,0,1] op_sel_hi:[1,1,0] neg_lo:[0,0,1] neg_hi:[0,0,1]
	v_pk_fma_f32 v[0:1], v[98:99], v[6:7], v[0:1] op_sel:[0,0,1] op_sel_hi:[1,0,0]
	v_pk_add_f32 v[78:79], v[78:79], v[34:35]
	v_mov_b32_e32 v13, v1
	v_pk_mul_f32 v[0:1], v[100:101], v[8:9] op_sel:[0,1]
	v_pk_add_f32 v[98:99], v[102:103], v[12:13]
	v_pk_fma_f32 v[6:7], v[100:101], v[8:9], v[0:1] op_sel:[0,0,1] op_sel_hi:[1,1,0] neg_lo:[0,0,1] neg_hi:[0,0,1]
	v_pk_fma_f32 v[0:1], v[100:101], v[8:9], v[0:1] op_sel:[0,0,1] op_sel_hi:[1,0,0]
	v_pk_add_f32 v[100:101], v[102:103], v[12:13] neg_lo:[0,1] neg_hi:[0,1]
	v_mov_b32_e32 v7, v1
	v_pk_add_f32 v[16:17], v[112:113], v[6:7] neg_lo:[0,1] neg_hi:[0,1]
	v_pk_add_f32 v[8:9], v[112:113], v[6:7]
	v_pk_mul_f32 v[0:1], v[16:17], s[28:29] op_sel:[1,0] op_sel_hi:[0,0]
	v_pk_fma_f32 v[110:111], v[8:9], s[4:5], v[0:1] op_sel_hi:[1,0,1] neg_lo:[0,0,1] neg_hi:[0,0,1]
	v_pk_fma_f32 v[120:121], v[8:9], s[4:5], v[0:1] op_sel_hi:[1,0,1]
	v_mov_b32_e32 v1, v111
	v_mov_b32_e32 v0, v120
	v_pk_add_f32 v[0:1], v[0:1], v[104:105]
	v_pk_mul_f32 v[104:105], v[100:101], s[30:31] op_sel:[1,0] op_sel_hi:[0,0]
	v_pk_fma_f32 v[122:123], v[98:99], s[20:21], v[104:105] op_sel_hi:[1,0,1] neg_lo:[0,0,1] neg_hi:[0,0,1]
	v_pk_fma_f32 v[104:105], v[98:99], s[20:21], v[104:105] op_sel_hi:[1,0,1]
	v_mov_b32_e32 v125, v123
	v_mov_b32_e32 v124, v104
	;; [unrolled: 1-line block ×4, first 2 shown]
	v_pk_add_f32 v[0:1], v[124:125], v[0:1]
	v_pk_add_f32 v[78:79], v[78:79], v[112:113]
	v_mov_b32_e32 v108, v90
	v_mov_b32_e32 v109, v85
	v_pk_add_f32 v[0:1], v[106:107], v[0:1]
	v_mov_b32_e32 v106, v9
	v_mov_b32_e32 v107, v16
	v_pk_add_f32 v[78:79], v[78:79], v[102:103]
	v_pk_mul_f32 v[124:125], v[116:117], s[16:17]
	v_pk_mul_f32 v[118:119], v[118:119], s[16:17]
	v_pk_add_f32 v[0:1], v[108:109], v[0:1]
	v_pk_mul_f32 v[108:109], v[106:107], s[18:19]
	v_mov_b32_e32 v126, v100
	v_mov_b32_e32 v127, v99
	s_mov_b32 s17, s4
	v_pk_add_f32 v[76:77], v[78:79], v[76:77]
	v_pk_fma_f32 v[52:53], v[40:41], s[10:11], v[10:11]
	v_pk_fma_f32 v[40:41], v[40:41], s[10:11], v[10:11] neg_lo:[1,0,0] neg_hi:[1,0,0]
	v_mov_b32_e32 v11, v108
	v_pk_mul_f32 v[128:129], v[126:127], s[16:17]
	v_pk_add_f32 v[66:67], v[76:77], v[66:67]
	v_pk_fma_f32 v[106:107], v[106:107], s[18:19], v[10:11] neg_lo:[1,0,0] neg_hi:[1,0,0]
	v_mov_b32_e32 v11, v128
	v_pk_add_f32 v[66:67], v[66:67], v[80:81]
	v_pk_fma_f32 v[128:129], v[126:127], s[16:17], v[10:11]
	v_pk_fma_f32 v[126:127], v[126:127], s[16:17], v[10:11] neg_lo:[0,0,1] neg_hi:[0,0,1]
	v_pk_add_f32 v[66:67], v[66:67], v[68:69]
	v_mov_b32_e32 v11, v86
	v_pk_add_f32 v[12:13], v[66:67], v[12:13]
	v_pk_add_f32 v[66:67], v[10:11], v[34:35]
	v_mov_b32_e32 v11, v73
	v_mov_b32_e32 v111, v121
	v_pk_add_f32 v[10:11], v[10:11], v[34:35]
	v_mov_b32_e32 v123, v105
	v_pk_add_f32 v[10:11], v[110:111], v[10:11]
	;; [unrolled: 2-line block ×3, first 2 shown]
	v_pk_add_f32 v[6:7], v[12:13], v[6:7]
	v_mov_b32_e32 v85, v91
	v_pk_add_f32 v[10:11], v[82:83], v[10:11]
	v_pk_add_f32 v[6:7], v[6:7], v[74:75]
	v_pk_mul_f32 v[104:105], v[16:17], s[24:25] op_sel:[1,0] op_sel_hi:[0,0]
	v_pk_add_f32 v[10:11], v[84:85], v[10:11]
	v_mov_b32_e32 v68, v44
	v_mov_b32_e32 v69, v47
	v_pk_fma_f32 v[82:83], v[8:9], s[14:15], v[104:105] op_sel_hi:[1,0,1]
	v_pk_fma_f32 v[104:105], v[8:9], s[14:15], v[104:105] op_sel_hi:[1,0,1] neg_lo:[0,0,1] neg_hi:[0,0,1]
	s_barrier
	ds_write2_b64 v20, v[6:7], v[10:11] offset1:13
	v_pk_mul_f32 v[6:7], v[100:101], s[22:23] op_sel:[1,0] op_sel_hi:[0,0]
	v_pk_add_f32 v[68:69], v[68:69], v[34:35]
	v_mov_b32_e32 v84, v82
	v_mov_b32_e32 v85, v105
	v_pk_fma_f32 v[110:111], v[98:99], s[10:11], v[6:7] op_sel_hi:[1,0,1]
	v_pk_fma_f32 v[6:7], v[98:99], s[10:11], v[6:7] op_sel_hi:[1,0,1] neg_lo:[0,0,1] neg_hi:[0,0,1]
	v_pk_mul_f32 v[18:19], v[38:39], s[20:21]
	v_mov_b32_e32 v132, v101
	v_mov_b32_e32 v133, v17
	s_mov_b32 s28, s16
	s_mov_b32 s29, s19
	v_pk_add_f32 v[10:11], v[84:85], v[68:69]
	v_mov_b32_e32 v68, v110
	v_mov_b32_e32 v69, v7
	v_mov_b32_e32 v18, v19
	s_mov_b32 s17, s13
	v_pk_mul_f32 v[134:135], v[132:133], s[28:29]
	s_mov_b32 s28, s13
	s_mov_b32 s13, s26
	v_mov_b32_e32 v140, v100
	v_mov_b32_e32 v141, v16
	;; [unrolled: 1-line block ×4, first 2 shown]
	v_pk_add_f32 v[10:11], v[68:69], v[10:11]
	v_pk_fma_f32 v[50:51], v[38:39], s[20:21], v[18:19] neg_lo:[0,0,1] neg_hi:[0,0,1]
	v_pk_fma_f32 v[18:19], v[38:39], s[20:21], v[18:19]
	v_mov_b32_e32 v130, v98
	v_mov_b32_e32 v131, v8
	s_mov_b32 s29, s20
	v_pk_mul_f32 v[132:133], v[132:133], s[12:13]
	v_pk_mul_f32 v[140:141], v[140:141], s[12:13]
	s_mov_b32 s21, s12
	v_pk_add_f32 v[12:13], v[12:13], v[10:11]
	v_pk_mul_f32 v[10:11], v[16:17], s[22:23] op_sel:[1,0] op_sel_hi:[0,0]
	s_mov_b32 s12, s19
	v_pk_fma_f32 v[136:137], v[130:131], s[4:5], v[134:135] neg_lo:[0,0,1] neg_hi:[0,0,1]
	v_pk_fma_f32 v[134:135], v[130:131], s[4:5], v[134:135]
	v_pk_fma_f32 v[138:139], v[130:131], s[28:29], v[132:133] neg_lo:[0,0,1] neg_hi:[0,0,1]
	v_pk_fma_f32 v[130:131], v[130:131], s[28:29], v[132:133]
	v_mov_b32_e32 v133, v9
	v_mov_b32_e32 v74, v64
	;; [unrolled: 1-line block ×3, first 2 shown]
	v_pk_fma_f32 v[16:17], v[8:9], s[10:11], v[10:11] op_sel_hi:[1,0,1] neg_lo:[0,0,1] neg_hi:[0,0,1]
	v_pk_fma_f32 v[8:9], v[8:9], s[10:11], v[10:11] op_sel_hi:[1,0,1]
	v_pk_mul_f32 v[10:11], v[100:101], s[12:13] op_sel:[1,0] op_sel_hi:[0,0]
	v_mov_b32_e32 v132, v99
	v_pk_add_f32 v[74:75], v[74:75], v[34:35]
	v_pk_fma_f32 v[84:85], v[98:99], s[18:19], v[10:11] op_sel_hi:[1,0,1] neg_lo:[0,0,1] neg_hi:[0,0,1]
	v_pk_fma_f32 v[98:99], v[98:99], s[18:19], v[10:11] op_sel_hi:[1,0,1]
	v_mov_b32_e32 v10, v8
	v_mov_b32_e32 v11, v17
	v_pk_add_f32 v[10:11], v[10:11], v[74:75]
	v_mov_b32_e32 v74, v98
	v_mov_b32_e32 v75, v85
	v_mov_b32_e32 v72, v62
	v_mov_b32_e32 v73, v55
	v_pk_add_f32 v[10:11], v[74:75], v[10:11]
	v_pk_mul_f32 v[74:75], v[4:5], s[4:5]
	v_pk_add_f32 v[10:11], v[72:73], v[10:11]
	v_pk_fma_f32 v[72:73], v[4:5], s[4:5], v[118:119]
	v_pk_fma_f32 v[100:101], v[4:5], s[4:5], v[118:119] neg_lo:[0,0,1] neg_hi:[0,0,1]
	v_mov_b32_e32 v4, v26
	v_mov_b32_e32 v5, v23
	;; [unrolled: 1-line block ×3, first 2 shown]
	v_pk_add_f32 v[4:5], v[4:5], v[12:13]
	v_pk_add_f32 v[12:13], v[60:61], v[34:35]
	v_mov_b32_e32 v17, v9
	s_mov_b32 s20, s11
	v_pk_add_f32 v[8:9], v[16:17], v[12:13]
	v_mov_b32_e32 v51, v109
	v_mov_b32_e32 v16, v34
	;; [unrolled: 1-line block ×3, first 2 shown]
	v_pk_mul_f32 v[78:79], v[58:59], s[10:11]
	s_mov_b32 s16, s10
	v_pk_mul_f32 v[80:81], v[116:117], s[20:21]
	v_pk_add_f32 v[16:17], v[50:51], v[16:17]
	v_mov_b32_e32 v66, v137
	v_pk_fma_f32 v[86:87], v[114:115], s[16:17], v[80:81] neg_lo:[0,0,1] neg_hi:[0,0,1]
	v_pk_fma_f32 v[102:103], v[114:115], s[16:17], v[80:81]
	v_mov_b32_e32 v85, v99
	v_mov_b32_e32 v81, v78
	v_pk_add_f32 v[16:17], v[66:67], v[16:17]
	v_mov_b32_e32 v137, v129
	v_mov_b32_e32 v55, v63
	v_pk_add_f32 v[8:9], v[84:85], v[8:9]
	v_pk_fma_f32 v[12:13], v[58:59], s[10:11], v[80:81]
	v_pk_add_f32 v[16:17], v[136:137], v[16:17]
	v_mov_b32_e32 v42, v87
	v_pk_fma_f32 v[48:49], v[38:39], s[10:11], v[14:15] neg_lo:[0,0,1] neg_hi:[0,0,1]
	v_mov_b32_e32 v77, v57
	v_mov_b32_e32 v57, v71
	v_pk_add_f32 v[8:9], v[54:55], v[8:9]
	v_mov_b32_e32 v12, v86
	v_pk_add_f32 v[16:17], v[42:43], v[16:17]
	v_pk_fma_f32 v[142:143], v[132:133], s[28:29], v[140:141]
	v_pk_add_f32 v[8:9], v[56:57], v[8:9]
	v_pk_add_f32 v[12:13], v[12:13], v[16:17]
	v_mov_b32_e32 v49, v53
	v_mov_b32_e32 v7, v78
	ds_write2_b64 v20, v[8:9], v[12:13] offset0:26 offset1:39
	v_pk_add_f32 v[8:9], v[48:49], v[34:35]
	v_mov_b32_e32 v16, v139
	v_mov_b32_e32 v17, v143
	v_pk_fma_f32 v[88:89], v[114:115], s[4:5], v[124:125] neg_lo:[0,0,1] neg_hi:[0,0,1]
	v_pk_fma_f32 v[68:69], v[58:59], s[10:11], v[6:7] neg_lo:[1,0,0] neg_hi:[1,0,0]
	v_mov_b32_e32 v7, v118
	v_mov_b32_e32 v13, v74
	v_pk_add_f32 v[8:9], v[16:17], v[8:9]
	v_mov_b32_e32 v139, v142
	v_pk_add_f32 v[12:13], v[6:7], v[12:13]
	v_pk_add_f32 v[8:9], v[138:139], v[8:9]
	v_mov_b32_e32 v72, v89
	v_mov_b32_e32 v12, v88
	v_pk_add_f32 v[8:9], v[72:73], v[8:9]
	v_mov_b32_e32 v47, v45
	v_pk_add_f32 v[8:9], v[12:13], v[8:9]
	v_pk_add_f32 v[12:13], v[46:47], v[34:35]
	v_mov_b32_e32 v105, v83
	v_mov_b32_e32 v7, v111
	v_pk_add_f32 v[12:13], v[104:105], v[12:13]
	v_mov_b32_e32 v25, v37
	v_pk_add_f32 v[6:7], v[6:7], v[12:13]
	v_pk_fma_f32 v[38:39], v[38:39], s[10:11], v[14:15]
	v_mov_b32_e32 v23, v27
	v_pk_add_f32 v[6:7], v[24:25], v[6:7]
	v_pk_fma_f32 v[132:133], v[132:133], s[28:29], v[140:141] neg_lo:[0,0,1] neg_hi:[0,0,1]
	v_pk_add_f32 v[6:7], v[22:23], v[6:7]
	v_mov_b32_e32 v39, v41
	ds_write2_b64 v20, v[8:9], v[6:7] offset0:52 offset1:65
	v_pk_add_f32 v[6:7], v[38:39], v[34:35]
	v_mov_b32_e32 v8, v131
	v_mov_b32_e32 v9, v133
	v_pk_fma_f32 v[90:91], v[114:115], s[4:5], v[124:125]
	v_pk_add_f32 v[6:7], v[8:9], v[6:7]
	v_mov_b32_e32 v131, v132
	v_pk_add_f32 v[6:7], v[130:131], v[6:7]
	v_mov_b32_e32 v8, v91
	v_mov_b32_e32 v9, v101
	;; [unrolled: 1-line block ×3, first 2 shown]
	v_pk_add_f32 v[6:7], v[8:9], v[6:7]
	v_pk_add_f32 v[8:9], v[18:19], v[34:35]
	v_mov_b32_e32 v106, v135
	v_pk_add_f32 v[8:9], v[106:107], v[8:9]
	v_mov_b32_e32 v135, v127
	;; [unrolled: 2-line block ×3, first 2 shown]
	v_mov_b32_e32 v76, v70
	v_mov_b32_e32 v91, v100
	v_pk_add_f32 v[8:9], v[14:15], v[8:9]
	v_mov_b32_e32 v103, v69
	v_pk_add_f32 v[10:11], v[76:77], v[10:11]
	v_pk_add_f32 v[6:7], v[90:91], v[6:7]
	;; [unrolled: 1-line block ×3, first 2 shown]
	ds_write2_b64 v20, v[4:5], v[6:7] offset0:78 offset1:91
	ds_write2_b64 v20, v[8:9], v[10:11] offset0:104 offset1:117
	ds_write_b64 v20, v[0:1] offset:1040
	s_waitcnt lgkmcnt(0)
	s_barrier
	ds_read2_b64 v[16:19], v95 offset0:15 offset1:158
	ds_read2_b64 v[12:15], v96 offset0:45 offset1:188
	ds_read_b64 v[20:21], v93
	ds_read_b64 v[22:23], v94 offset:5720
	s_movk_i32 s4, 0x41
	v_cmp_gt_u32_e32 vcc, s4, v32
	s_and_saveexec_b64 s[4:5], vcc
	s_cbranch_execz .LBB0_16
; %bb.15:
	v_add_u32_e32 v0, 0x800, v94
	ds_read2_b64 v[8:11], v0 offset0:108 offset1:251
	v_add_u32_e32 v0, 0x1400, v94
	ds_read2_b64 v[4:7], v94 offset0:78 offset1:221
	ds_read2_b64 v[0:3], v0 offset0:10 offset1:153
.LBB0_16:
	s_or_b64 exec, exec, s[4:5]
	v_mul_u32_u24_e32 v24, 5, v32
	v_lshlrev_b32_e32 v24, 3, v24
	global_load_dwordx4 v[34:37], v24, s[8:9] offset:1040
	global_load_dwordx4 v[38:41], v24, s[8:9] offset:1056
	global_load_dwordx2 v[26:27], v24, s[8:9] offset:1072
	s_mov_b32 s4, 0x3f5db3d7
	s_mov_b32 s5, 0xbf5db3d7
	v_add_u32_e32 v24, 0x800, v94
	v_add_u32_e32 v25, 0x1000, v94
	s_waitcnt lgkmcnt(0)
	s_barrier
	s_waitcnt vmcnt(2)
	v_pk_mul_f32 v[42:43], v[34:35], v[16:17] op_sel:[0,1]
	v_pk_mul_f32 v[44:45], v[36:37], v[18:19] op_sel:[0,1]
	s_waitcnt vmcnt(1)
	v_pk_mul_f32 v[46:47], v[38:39], v[12:13] op_sel:[0,1]
	v_pk_mul_f32 v[48:49], v[40:41], v[14:15] op_sel:[0,1]
	s_waitcnt vmcnt(0)
	v_pk_mul_f32 v[50:51], v[26:27], v[22:23] op_sel:[0,1]
	v_pk_fma_f32 v[52:53], v[34:35], v[16:17], v[42:43] op_sel:[0,0,1] op_sel_hi:[1,1,0] neg_lo:[0,0,1] neg_hi:[0,0,1]
	v_pk_fma_f32 v[16:17], v[34:35], v[16:17], v[42:43] op_sel:[0,0,1] op_sel_hi:[1,0,0]
	v_pk_fma_f32 v[34:35], v[36:37], v[18:19], v[44:45] op_sel:[0,0,1] op_sel_hi:[1,1,0] neg_lo:[0,0,1] neg_hi:[0,0,1]
	v_pk_fma_f32 v[18:19], v[36:37], v[18:19], v[44:45] op_sel:[0,0,1] op_sel_hi:[1,0,0]
	;; [unrolled: 2-line block ×5, first 2 shown]
	v_mov_b32_e32 v35, v19
	v_mov_b32_e32 v37, v13
	;; [unrolled: 1-line block ×5, first 2 shown]
	v_pk_add_f32 v[16:17], v[34:35], v[38:39]
	v_pk_add_f32 v[18:19], v[34:35], v[38:39] neg_lo:[0,1] neg_hi:[0,1]
	v_pk_add_f32 v[22:23], v[36:37], v[40:41]
	v_pk_add_f32 v[12:13], v[20:21], v[34:35]
	;; [unrolled: 1-line block ×3, first 2 shown]
	v_pk_add_f32 v[26:27], v[36:37], v[40:41] neg_lo:[0,1] neg_hi:[0,1]
	v_pk_fma_f32 v[16:17], v[16:17], 0.5, v[20:21] op_sel_hi:[1,0,1] neg_lo:[1,0,0] neg_hi:[1,0,0]
	v_pk_mul_f32 v[18:19], v[18:19], s[4:5] op_sel_hi:[1,0]
	v_pk_fma_f32 v[20:21], v[22:23], 0.5, v[52:53] op_sel_hi:[1,0,1] neg_lo:[1,0,0] neg_hi:[1,0,0]
	v_pk_add_f32 v[12:13], v[12:13], v[38:39]
	v_pk_add_f32 v[14:15], v[14:15], v[40:41]
	v_pk_add_f32 v[34:35], v[18:19], v[16:17] op_sel:[1,0] op_sel_hi:[0,1]
	v_pk_add_f32 v[16:17], v[16:17], v[18:19] op_sel:[0,1] op_sel_hi:[1,0] neg_lo:[0,1] neg_hi:[0,1]
	v_pk_fma_f32 v[18:19], v[26:27], s[4:5], v[20:21] op_sel:[0,0,1] op_sel_hi:[1,0,0]
	v_pk_fma_f32 v[20:21], v[26:27], s[4:5], v[20:21] op_sel:[0,0,1] op_sel_hi:[1,0,0] neg_lo:[1,0,0] neg_hi:[1,0,0]
	v_pk_add_f32 v[22:23], v[12:13], v[14:15]
	v_pk_add_f32 v[12:13], v[12:13], v[14:15] neg_lo:[0,1] neg_hi:[0,1]
	v_mov_b32_e32 v14, v16
	v_mov_b32_e32 v26, v18
	;; [unrolled: 1-line block ×3, first 2 shown]
	v_mul_f32_e32 v16, 0x3f5db3d7, v20
	v_mov_b32_e32 v15, v35
	v_mul_f32_e32 v35, 0xbf5db3d7, v19
	v_fmac_f32_e32 v16, 0.5, v19
	v_pk_mul_f32 v[18:19], v[26:27], 0.5 op_sel_hi:[1,0]
	v_fmac_f32_e32 v35, 0.5, v20
	v_pk_fma_f32 v[18:19], v[26:27], s[4:5], v[18:19] op_sel:[0,0,1] op_sel_hi:[1,1,0] neg_lo:[0,0,1] neg_hi:[0,0,1]
	v_add_f32_e32 v20, v34, v16
	v_add_f32_e32 v21, v17, v35
	v_pk_add_f32 v[26:27], v[14:15], v[18:19]
	v_sub_f32_e32 v16, v34, v16
	v_sub_f32_e32 v17, v17, v35
	ds_write2_b64 v94, v[22:23], v[20:21] offset1:143
	v_pk_add_f32 v[14:15], v[14:15], v[18:19] neg_lo:[0,1] neg_hi:[0,1]
	ds_write2_b64 v24, v[26:27], v[12:13] offset0:30 offset1:173
	ds_write2_b64 v25, v[16:17], v[14:15] offset0:60 offset1:203
	s_and_saveexec_b64 s[10:11], vcc
	s_cbranch_execz .LBB0_18
; %bb.17:
	v_add_u32_e32 v12, 0x4e, v32
	v_add_u32_e32 v13, 0xffffffbf, v32
	v_cndmask_b32_e32 v12, v13, v12, vcc
	v_mul_i32_i24_e32 v12, 5, v12
	v_mov_b32_e32 v13, 0
	v_lshl_add_u64 v[20:21], v[12:13], 3, s[8:9]
	global_load_dwordx4 v[12:15], v[20:21], off offset:1040
	global_load_dwordx4 v[16:19], v[20:21], off offset:1056
	global_load_dwordx2 v[22:23], v[20:21], off offset:1072
	v_mov_b32_e32 v20, v9
	v_mov_b32_e32 v26, v7
	v_add_u32_e32 v25, 0x1400, v94
	s_waitcnt vmcnt(2)
	v_pk_mul_f32 v[20:21], v[20:21], v[14:15] op_sel_hi:[0,1]
	s_waitcnt vmcnt(1)
	v_pk_mul_f32 v[34:35], v[0:1], v[18:19] op_sel:[1,0]
	v_pk_mul_f32 v[36:37], v[10:11], v[16:17] op_sel:[1,0]
	s_waitcnt vmcnt(0)
	v_pk_mul_f32 v[38:39], v[2:3], v[22:23] op_sel:[1,0]
	v_pk_mul_f32 v[26:27], v[26:27], v[12:13] op_sel_hi:[0,1]
	v_pk_fma_f32 v[40:41], v[8:9], v[14:15], v[20:21] op_sel:[0,0,1] op_sel_hi:[1,1,0] neg_lo:[0,0,1] neg_hi:[0,0,1]
	v_pk_fma_f32 v[8:9], v[8:9], v[14:15], v[20:21] op_sel:[0,0,1] op_sel_hi:[0,1,0]
	v_pk_fma_f32 v[14:15], v[0:1], v[18:19], v[34:35] op_sel:[0,0,1] op_sel_hi:[1,1,0] neg_lo:[0,0,1] neg_hi:[0,0,1]
	v_pk_fma_f32 v[0:1], v[0:1], v[18:19], v[34:35] op_sel:[0,0,1] op_sel_hi:[0,1,0]
	;; [unrolled: 2-line block ×5, first 2 shown]
	v_mov_b32_e32 v19, v11
	v_mov_b32_e32 v17, v3
	;; [unrolled: 1-line block ×5, first 2 shown]
	v_pk_add_f32 v[8:9], v[18:19], v[16:17]
	v_pk_add_f32 v[0:1], v[4:5], v[40:41]
	;; [unrolled: 1-line block ×3, first 2 shown]
	v_pk_add_f32 v[6:7], v[18:19], v[16:17] neg_lo:[0,1] neg_hi:[0,1]
	v_pk_add_f32 v[10:11], v[40:41], v[14:15]
	v_pk_add_f32 v[12:13], v[40:41], v[14:15] neg_lo:[0,1] neg_hi:[0,1]
	v_pk_fma_f32 v[8:9], v[8:9], 0.5, v[20:21] op_sel_hi:[1,0,1] neg_lo:[1,0,0] neg_hi:[1,0,0]
	v_pk_add_f32 v[0:1], v[0:1], v[14:15]
	v_pk_add_f32 v[2:3], v[2:3], v[16:17]
	v_pk_fma_f32 v[4:5], v[10:11], 0.5, v[4:5] op_sel_hi:[1,0,1] neg_lo:[1,0,0] neg_hi:[1,0,0]
	v_pk_mul_f32 v[10:11], v[12:13], s[4:5] op_sel_hi:[1,0]
	v_pk_fma_f32 v[14:15], v[6:7], s[4:5], v[8:9] op_sel:[0,0,1] op_sel_hi:[1,0,0]
	v_pk_fma_f32 v[6:7], v[6:7], s[4:5], v[8:9] op_sel:[0,0,1] op_sel_hi:[1,0,0] neg_lo:[1,0,0] neg_hi:[1,0,0]
	v_pk_add_f32 v[12:13], v[0:1], v[2:3]
	v_pk_add_f32 v[8:9], v[4:5], v[10:11] op_sel:[0,1] op_sel_hi:[1,0] neg_lo:[0,1] neg_hi:[0,1]
	v_pk_add_f32 v[4:5], v[4:5], v[10:11] op_sel:[0,1] op_sel_hi:[1,0]
	v_pk_add_f32 v[0:1], v[0:1], v[2:3] neg_lo:[0,1] neg_hi:[0,1]
	v_mov_b32_e32 v2, v14
	v_mov_b32_e32 v3, v7
	;; [unrolled: 1-line block ×4, first 2 shown]
	v_mul_f32_e32 v5, 0xbf5db3d7, v15
	v_mul_f32_e32 v8, 0x3f5db3d7, v6
	v_pk_mul_f32 v[16:17], v[2:3], 0.5 op_sel_hi:[1,0]
	v_fmac_f32_e32 v5, 0.5, v6
	v_fmac_f32_e32 v8, 0.5, v15
	v_pk_fma_f32 v[2:3], v[2:3], s[4:5], v[16:17] op_sel:[0,0,1] op_sel_hi:[1,1,0] neg_lo:[0,0,1] neg_hi:[0,0,1]
	v_sub_f32_e32 v7, v9, v5
	v_sub_f32_e32 v6, v4, v8
	v_add_f32_e32 v5, v9, v5
	v_add_f32_e32 v4, v4, v8
	v_pk_add_f32 v[8:9], v[10:11], v[2:3]
	ds_write2_b64 v94, v[12:13], v[4:5] offset0:78 offset1:221
	v_pk_add_f32 v[2:3], v[10:11], v[2:3] neg_lo:[0,1] neg_hi:[0,1]
	ds_write2_b64 v24, v[8:9], v[0:1] offset0:108 offset1:251
	ds_write2_b64 v25, v[6:7], v[2:3] offset0:10 offset1:153
.LBB0_18:
	s_or_b64 exec, exec, s[10:11]
	s_waitcnt lgkmcnt(0)
	s_barrier
	ds_read_b64 v[0:1], v93
	s_add_u32 s4, s8, 0x1a68
	s_addc_u32 s5, s9, 0
	v_sub_u32_e32 v8, v92, v33
	v_cmp_ne_u32_e32 vcc, 0, v32
                                        ; implicit-def: $vgpr4_vgpr5
                                        ; implicit-def: $vgpr3
                                        ; implicit-def: $vgpr6_vgpr7
	s_and_saveexec_b64 s[8:9], vcc
	s_xor_b64 s[8:9], exec, s[8:9]
	s_cbranch_execz .LBB0_20
; %bb.19:
	v_mov_b32_e32 v33, 0
	v_lshl_add_u64 v[2:3], v[32:33], 3, s[4:5]
	global_load_dwordx2 v[4:5], v[2:3], off
	ds_read_b64 v[2:3], v8 offset:6864
	v_mov_b32_e32 v7, 0.5
	v_mov_b32_e32 v10, v7
	s_waitcnt lgkmcnt(0)
	v_pk_add_f32 v[12:13], v[2:3], v[0:1]
	v_pk_add_f32 v[0:1], v[0:1], v[2:3] neg_lo:[0,1] neg_hi:[0,1]
	v_mov_b32_e32 v2, v13
	v_mov_b32_e32 v3, v0
	v_pk_mul_f32 v[14:15], v[2:3], 0.5 op_sel_hi:[1,0]
	s_waitcnt vmcnt(0)
	v_mov_b32_e32 v6, v5
	v_mov_b32_e32 v0, v15
	;; [unrolled: 1-line block ×4, first 2 shown]
	v_pk_mul_f32 v[0:1], v[6:7], v[0:1]
	v_pk_mul_f32 v[2:3], v[4:5], v[14:15] op_sel_hi:[0,1]
	v_pk_fma_f32 v[6:7], v[12:13], v[10:11], v[0:1]
	v_pk_fma_f32 v[0:1], v[12:13], v[10:11], v[0:1] neg_lo:[0,0,1] neg_hi:[0,0,1]
	v_add_f32_e32 v2, v2, v6
	v_sub_f32_e32 v3, v7, v3
	v_pk_fma_f32 v[4:5], v[4:5], v[14:15], v[0:1] op_sel_hi:[0,1,1] neg_lo:[1,0,0] neg_hi:[1,0,0]
	ds_write_b32 v93, v2
	v_mov_b64_e32 v[6:7], v[32:33]
                                        ; implicit-def: $vgpr0_vgpr1
.LBB0_20:
	s_andn2_saveexec_b64 s[8:9], s[8:9]
	s_cbranch_execz .LBB0_22
; %bb.21:
	ds_read_b32 v4, v92 offset:3436
	s_waitcnt lgkmcnt(1)
	v_mov_b32_e32 v2, v1
	v_add_f32_e32 v3, v1, v0
	ds_write_b32 v93, v3
	v_pk_add_f32 v[2:3], v[0:1], v[2:3] neg_lo:[0,1] neg_hi:[0,1]
	s_waitcnt lgkmcnt(1)
	v_xor_b32_e32 v0, 0x80000000, v4
	v_mov_b32_e32 v3, 0
	v_mov_b64_e32 v[6:7], 0
	v_mov_b64_e32 v[4:5], v[2:3]
	ds_write_b32 v92, v0 offset:3436
.LBB0_22:
	s_or_b64 exec, exec, s[8:9]
	s_waitcnt lgkmcnt(0)
	v_lshl_add_u64 v[0:1], v[6:7], 3, s[4:5]
	global_load_dwordx2 v[6:7], v[0:1], off offset:624
	global_load_dwordx2 v[10:11], v[0:1], off offset:1248
	;; [unrolled: 1-line block ×4, first 2 shown]
	ds_write_b32 v93, v3 offset:4
	ds_write_b64 v8, v[4:5] offset:6864
	ds_read_b64 v[4:5], v93 offset:624
	ds_read_b64 v[16:17], v8 offset:6240
	v_mov_b32_e32 v3, 0.5
	v_mov_b32_e32 v18, v3
	v_cmp_gt_u32_e32 vcc, 39, v32
	s_waitcnt lgkmcnt(0)
	v_pk_add_f32 v[20:21], v[4:5], v[16:17]
	v_pk_add_f32 v[4:5], v[4:5], v[16:17] neg_lo:[0,1] neg_hi:[0,1]
	v_mov_b32_e32 v16, v21
	v_mov_b32_e32 v17, v4
	v_pk_mul_f32 v[16:17], v[16:17], 0.5 op_sel_hi:[1,0]
	s_waitcnt vmcnt(3)
	v_mov_b32_e32 v2, v7
	v_mov_b32_e32 v4, v17
	;; [unrolled: 1-line block ×4, first 2 shown]
	v_pk_mul_f32 v[4:5], v[2:3], v[4:5]
	s_waitcnt vmcnt(2)
	v_mov_b32_e32 v2, v11
	v_pk_fma_f32 v[22:23], v[20:21], v[18:19], v[4:5]
	v_pk_fma_f32 v[4:5], v[20:21], v[18:19], v[4:5] neg_lo:[0,0,1] neg_hi:[0,0,1]
	v_pk_fma_f32 v[18:19], v[6:7], v[16:17], v[22:23]
	v_pk_fma_f32 v[20:21], v[6:7], v[16:17], v[22:23] op_sel_hi:[0,1,1] neg_lo:[1,0,0] neg_hi:[1,0,0]
	v_mov_b32_e32 v19, v21
	v_pk_fma_f32 v[4:5], v[6:7], v[16:17], v[4:5] op_sel_hi:[0,1,1] neg_lo:[1,0,0] neg_hi:[1,0,0]
	ds_write_b64 v93, v[18:19] offset:624
	ds_write_b64 v8, v[4:5] offset:6240
	ds_read_b64 v[4:5], v93 offset:1248
	ds_read_b64 v[6:7], v8 offset:5616
	v_mov_b32_e32 v16, v3
	v_mov_b32_e32 v17, v11
	s_waitcnt lgkmcnt(0)
	v_pk_add_f32 v[18:19], v[4:5], v[6:7]
	v_pk_add_f32 v[4:5], v[4:5], v[6:7] neg_lo:[0,1] neg_hi:[0,1]
	v_mov_b32_e32 v6, v19
	v_mov_b32_e32 v7, v4
	v_pk_mul_f32 v[6:7], v[6:7], 0.5 op_sel_hi:[1,0]
	s_nop 0
	v_mov_b32_e32 v4, v7
	v_mov_b32_e32 v19, v6
	v_pk_mul_f32 v[4:5], v[2:3], v[4:5]
	s_waitcnt vmcnt(1)
	v_mov_b32_e32 v2, v13
	v_pk_fma_f32 v[20:21], v[18:19], v[16:17], v[4:5]
	v_pk_fma_f32 v[4:5], v[18:19], v[16:17], v[4:5] neg_lo:[0,0,1] neg_hi:[0,0,1]
	v_pk_fma_f32 v[16:17], v[10:11], v[6:7], v[20:21]
	v_pk_fma_f32 v[18:19], v[10:11], v[6:7], v[20:21] op_sel_hi:[0,1,1] neg_lo:[1,0,0] neg_hi:[1,0,0]
	v_mov_b32_e32 v17, v19
	v_pk_fma_f32 v[4:5], v[10:11], v[6:7], v[4:5] op_sel_hi:[0,1,1] neg_lo:[1,0,0] neg_hi:[1,0,0]
	ds_write_b64 v93, v[16:17] offset:1248
	ds_write_b64 v8, v[4:5] offset:5616
	ds_read_b64 v[4:5], v93 offset:1872
	ds_read_b64 v[6:7], v8 offset:4992
	v_mov_b32_e32 v10, v3
	v_mov_b32_e32 v11, v13
	s_waitcnt lgkmcnt(0)
	v_pk_add_f32 v[16:17], v[4:5], v[6:7]
	v_pk_add_f32 v[4:5], v[4:5], v[6:7] neg_lo:[0,1] neg_hi:[0,1]
	v_mov_b32_e32 v6, v17
	v_mov_b32_e32 v7, v4
	v_pk_mul_f32 v[6:7], v[6:7], 0.5 op_sel_hi:[1,0]
	s_nop 0
	v_mov_b32_e32 v4, v7
	v_mov_b32_e32 v17, v6
	;; [unrolled: 24-line block ×3, first 2 shown]
	v_pk_mul_f32 v[4:5], v[2:3], v[4:5]
	s_nop 0
	v_pk_fma_f32 v[16:17], v[12:13], v[10:11], v[4:5]
	v_pk_fma_f32 v[4:5], v[12:13], v[10:11], v[4:5] neg_lo:[0,0,1] neg_hi:[0,0,1]
	v_pk_fma_f32 v[10:11], v[14:15], v[6:7], v[16:17]
	v_pk_fma_f32 v[12:13], v[14:15], v[6:7], v[16:17] op_sel_hi:[0,1,1] neg_lo:[1,0,0] neg_hi:[1,0,0]
	v_mov_b32_e32 v11, v13
	v_pk_fma_f32 v[4:5], v[14:15], v[6:7], v[4:5] op_sel_hi:[0,1,1] neg_lo:[1,0,0] neg_hi:[1,0,0]
	ds_write_b64 v93, v[10:11] offset:2496
	ds_write_b64 v8, v[4:5] offset:4368
	s_and_saveexec_b64 s[4:5], vcc
	s_cbranch_execz .LBB0_24
; %bb.23:
	global_load_dwordx2 v[0:1], v[0:1], off offset:3120
	ds_read_b64 v[4:5], v93 offset:3120
	ds_read_b64 v[6:7], v8 offset:3744
	v_mov_b32_e32 v10, v3
	s_waitcnt lgkmcnt(0)
	v_pk_add_f32 v[12:13], v[4:5], v[6:7]
	v_pk_add_f32 v[4:5], v[4:5], v[6:7] neg_lo:[0,1] neg_hi:[0,1]
	v_mov_b32_e32 v6, v13
	v_mov_b32_e32 v7, v4
	v_pk_mul_f32 v[6:7], v[6:7], 0.5 op_sel_hi:[1,0]
	s_waitcnt vmcnt(0)
	v_mov_b32_e32 v2, v1
	v_mov_b32_e32 v4, v7
	;; [unrolled: 1-line block ×4, first 2 shown]
	v_pk_mul_f32 v[2:3], v[2:3], v[4:5]
	s_nop 0
	v_pk_fma_f32 v[4:5], v[12:13], v[10:11], v[2:3]
	v_pk_fma_f32 v[2:3], v[12:13], v[10:11], v[2:3] neg_lo:[0,0,1] neg_hi:[0,0,1]
	v_pk_fma_f32 v[10:11], v[0:1], v[6:7], v[4:5]
	v_pk_fma_f32 v[4:5], v[0:1], v[6:7], v[4:5] op_sel_hi:[0,1,1] neg_lo:[1,0,0] neg_hi:[1,0,0]
	v_mov_b32_e32 v11, v5
	v_pk_fma_f32 v[0:1], v[0:1], v[6:7], v[2:3] op_sel_hi:[0,1,1] neg_lo:[1,0,0] neg_hi:[1,0,0]
	ds_write_b64 v93, v[10:11] offset:3120
	ds_write_b64 v8, v[0:1] offset:3744
.LBB0_24:
	s_or_b64 exec, exec, s[4:5]
	s_waitcnt lgkmcnt(0)
	s_barrier
	s_and_saveexec_b64 s[4:5], s[0:1]
	s_cbranch_execz .LBB0_27
; %bb.25:
	v_mul_lo_u32 v2, s3, v30
	v_mul_lo_u32 v3, s2, v31
	v_mad_u64_u32 v[0:1], s[0:1], s2, v30, 0
	v_add3_u32 v1, v1, v3, v2
	v_lshl_add_u32 v2, v32, 3, v92
	ds_read2_b64 v[4:7], v2 offset1:78
	v_lshl_add_u64 v[0:1], v[0:1], 3, s[6:7]
	v_mov_b32_e32 v33, 0
	v_lshl_add_u64 v[0:1], v[28:29], 3, v[0:1]
	v_lshl_add_u64 v[8:9], v[32:33], 3, v[0:1]
	s_waitcnt lgkmcnt(0)
	global_store_dwordx2 v[8:9], v[4:5], off
	ds_read2_b64 v[8:11], v2 offset0:156 offset1:234
	v_add_u32_e32 v4, 0x4e, v32
	v_mov_b32_e32 v5, v33
	v_lshl_add_u64 v[4:5], v[4:5], 3, v[0:1]
	global_store_dwordx2 v[4:5], v[6:7], off
	v_add_u32_e32 v4, 0x9c, v32
	v_mov_b32_e32 v5, v33
	v_lshl_add_u64 v[4:5], v[4:5], 3, v[0:1]
	s_waitcnt lgkmcnt(0)
	global_store_dwordx2 v[4:5], v[8:9], off
	v_add_u32_e32 v4, 0xea, v32
	v_mov_b32_e32 v5, v33
	v_add_u32_e32 v3, 0x800, v2
	v_lshl_add_u64 v[8:9], v[4:5], 3, v[0:1]
	ds_read2_b64 v[4:7], v3 offset0:56 offset1:134
	global_store_dwordx2 v[8:9], v[10:11], off
	v_add_u32_e32 v8, 0x138, v32
	v_mov_b32_e32 v9, v33
	v_lshl_add_u64 v[8:9], v[8:9], 3, v[0:1]
	v_add_u32_e32 v3, 0xc00, v2
	s_waitcnt lgkmcnt(0)
	global_store_dwordx2 v[8:9], v[4:5], off
	ds_read2_b64 v[8:11], v3 offset0:84 offset1:162
	v_add_u32_e32 v4, 0x186, v32
	v_mov_b32_e32 v5, v33
	v_lshl_add_u64 v[4:5], v[4:5], 3, v[0:1]
	global_store_dwordx2 v[4:5], v[6:7], off
	v_add_u32_e32 v4, 0x1d4, v32
	v_mov_b32_e32 v5, v33
	v_lshl_add_u64 v[4:5], v[4:5], 3, v[0:1]
	s_waitcnt lgkmcnt(0)
	global_store_dwordx2 v[4:5], v[8:9], off
	v_add_u32_e32 v4, 0x222, v32
	v_mov_b32_e32 v5, v33
	v_add_u32_e32 v3, 0x1000, v2
	v_lshl_add_u64 v[8:9], v[4:5], 3, v[0:1]
	ds_read2_b64 v[4:7], v3 offset0:112 offset1:190
	global_store_dwordx2 v[8:9], v[10:11], off
	v_add_u32_e32 v8, 0x270, v32
	v_mov_b32_e32 v9, v33
	v_lshl_add_u64 v[8:9], v[8:9], 3, v[0:1]
	s_waitcnt lgkmcnt(0)
	global_store_dwordx2 v[8:9], v[4:5], off
	ds_read_b64 v[8:9], v2 offset:6240
	v_add_u32_e32 v4, 0x2be, v32
	v_mov_b32_e32 v5, v33
	v_lshl_add_u64 v[4:5], v[4:5], 3, v[0:1]
	global_store_dwordx2 v[4:5], v[6:7], off
	v_add_u32_e32 v4, 0x30c, v32
	v_mov_b32_e32 v5, v33
	s_movk_i32 s0, 0x4d
	v_lshl_add_u64 v[4:5], v[4:5], 3, v[0:1]
	v_cmp_eq_u32_e32 vcc, s0, v32
	s_waitcnt lgkmcnt(0)
	global_store_dwordx2 v[4:5], v[8:9], off
	s_and_b64 exec, exec, vcc
	s_cbranch_execz .LBB0_27
; %bb.26:
	ds_read_b64 v[2:3], v2 offset:6248
	v_add_co_u32_e32 v0, vcc, 0x1000, v0
	s_nop 1
	v_addc_co_u32_e32 v1, vcc, 0, v1, vcc
	s_waitcnt lgkmcnt(0)
	global_store_dwordx2 v[0:1], v[2:3], off offset:2768
.LBB0_27:
	s_endpgm
	.section	.rodata,"a",@progbits
	.p2align	6, 0x0
	.amdhsa_kernel fft_rtc_fwd_len858_factors_13_11_6_wgs_234_tpt_78_halfLds_sp_op_CI_CI_unitstride_sbrr_R2C_dirReg
		.amdhsa_group_segment_fixed_size 0
		.amdhsa_private_segment_fixed_size 0
		.amdhsa_kernarg_size 104
		.amdhsa_user_sgpr_count 2
		.amdhsa_user_sgpr_dispatch_ptr 0
		.amdhsa_user_sgpr_queue_ptr 0
		.amdhsa_user_sgpr_kernarg_segment_ptr 1
		.amdhsa_user_sgpr_dispatch_id 0
		.amdhsa_user_sgpr_kernarg_preload_length 0
		.amdhsa_user_sgpr_kernarg_preload_offset 0
		.amdhsa_user_sgpr_private_segment_size 0
		.amdhsa_uses_dynamic_stack 0
		.amdhsa_enable_private_segment 0
		.amdhsa_system_sgpr_workgroup_id_x 1
		.amdhsa_system_sgpr_workgroup_id_y 0
		.amdhsa_system_sgpr_workgroup_id_z 0
		.amdhsa_system_sgpr_workgroup_info 0
		.amdhsa_system_vgpr_workitem_id 0
		.amdhsa_next_free_vgpr 144
		.amdhsa_next_free_sgpr 42
		.amdhsa_accum_offset 144
		.amdhsa_reserve_vcc 1
		.amdhsa_float_round_mode_32 0
		.amdhsa_float_round_mode_16_64 0
		.amdhsa_float_denorm_mode_32 3
		.amdhsa_float_denorm_mode_16_64 3
		.amdhsa_dx10_clamp 1
		.amdhsa_ieee_mode 1
		.amdhsa_fp16_overflow 0
		.amdhsa_tg_split 0
		.amdhsa_exception_fp_ieee_invalid_op 0
		.amdhsa_exception_fp_denorm_src 0
		.amdhsa_exception_fp_ieee_div_zero 0
		.amdhsa_exception_fp_ieee_overflow 0
		.amdhsa_exception_fp_ieee_underflow 0
		.amdhsa_exception_fp_ieee_inexact 0
		.amdhsa_exception_int_div_zero 0
	.end_amdhsa_kernel
	.text
.Lfunc_end0:
	.size	fft_rtc_fwd_len858_factors_13_11_6_wgs_234_tpt_78_halfLds_sp_op_CI_CI_unitstride_sbrr_R2C_dirReg, .Lfunc_end0-fft_rtc_fwd_len858_factors_13_11_6_wgs_234_tpt_78_halfLds_sp_op_CI_CI_unitstride_sbrr_R2C_dirReg
                                        ; -- End function
	.section	.AMDGPU.csdata,"",@progbits
; Kernel info:
; codeLenInByte = 9216
; NumSgprs: 48
; NumVgprs: 144
; NumAgprs: 0
; TotalNumVgprs: 144
; ScratchSize: 0
; MemoryBound: 0
; FloatMode: 240
; IeeeMode: 1
; LDSByteSize: 0 bytes/workgroup (compile time only)
; SGPRBlocks: 5
; VGPRBlocks: 17
; NumSGPRsForWavesPerEU: 48
; NumVGPRsForWavesPerEU: 144
; AccumOffset: 144
; Occupancy: 3
; WaveLimiterHint : 1
; COMPUTE_PGM_RSRC2:SCRATCH_EN: 0
; COMPUTE_PGM_RSRC2:USER_SGPR: 2
; COMPUTE_PGM_RSRC2:TRAP_HANDLER: 0
; COMPUTE_PGM_RSRC2:TGID_X_EN: 1
; COMPUTE_PGM_RSRC2:TGID_Y_EN: 0
; COMPUTE_PGM_RSRC2:TGID_Z_EN: 0
; COMPUTE_PGM_RSRC2:TIDIG_COMP_CNT: 0
; COMPUTE_PGM_RSRC3_GFX90A:ACCUM_OFFSET: 35
; COMPUTE_PGM_RSRC3_GFX90A:TG_SPLIT: 0
	.text
	.p2alignl 6, 3212836864
	.fill 256, 4, 3212836864
	.type	__hip_cuid_2ef26cfa31d8f618,@object ; @__hip_cuid_2ef26cfa31d8f618
	.section	.bss,"aw",@nobits
	.globl	__hip_cuid_2ef26cfa31d8f618
__hip_cuid_2ef26cfa31d8f618:
	.byte	0                               ; 0x0
	.size	__hip_cuid_2ef26cfa31d8f618, 1

	.ident	"AMD clang version 19.0.0git (https://github.com/RadeonOpenCompute/llvm-project roc-6.4.0 25133 c7fe45cf4b819c5991fe208aaa96edf142730f1d)"
	.section	".note.GNU-stack","",@progbits
	.addrsig
	.addrsig_sym __hip_cuid_2ef26cfa31d8f618
	.amdgpu_metadata
---
amdhsa.kernels:
  - .agpr_count:     0
    .args:
      - .actual_access:  read_only
        .address_space:  global
        .offset:         0
        .size:           8
        .value_kind:     global_buffer
      - .offset:         8
        .size:           8
        .value_kind:     by_value
      - .actual_access:  read_only
        .address_space:  global
        .offset:         16
        .size:           8
        .value_kind:     global_buffer
      - .actual_access:  read_only
        .address_space:  global
        .offset:         24
        .size:           8
        .value_kind:     global_buffer
      - .actual_access:  read_only
        .address_space:  global
        .offset:         32
        .size:           8
        .value_kind:     global_buffer
      - .offset:         40
        .size:           8
        .value_kind:     by_value
      - .actual_access:  read_only
        .address_space:  global
        .offset:         48
        .size:           8
        .value_kind:     global_buffer
      - .actual_access:  read_only
        .address_space:  global
        .offset:         56
        .size:           8
        .value_kind:     global_buffer
      - .offset:         64
        .size:           4
        .value_kind:     by_value
      - .actual_access:  read_only
        .address_space:  global
        .offset:         72
        .size:           8
        .value_kind:     global_buffer
      - .actual_access:  read_only
        .address_space:  global
        .offset:         80
        .size:           8
        .value_kind:     global_buffer
      - .actual_access:  read_only
        .address_space:  global
        .offset:         88
        .size:           8
        .value_kind:     global_buffer
      - .actual_access:  write_only
        .address_space:  global
        .offset:         96
        .size:           8
        .value_kind:     global_buffer
    .group_segment_fixed_size: 0
    .kernarg_segment_align: 8
    .kernarg_segment_size: 104
    .language:       OpenCL C
    .language_version:
      - 2
      - 0
    .max_flat_workgroup_size: 234
    .name:           fft_rtc_fwd_len858_factors_13_11_6_wgs_234_tpt_78_halfLds_sp_op_CI_CI_unitstride_sbrr_R2C_dirReg
    .private_segment_fixed_size: 0
    .sgpr_count:     48
    .sgpr_spill_count: 0
    .symbol:         fft_rtc_fwd_len858_factors_13_11_6_wgs_234_tpt_78_halfLds_sp_op_CI_CI_unitstride_sbrr_R2C_dirReg.kd
    .uniform_work_group_size: 1
    .uses_dynamic_stack: false
    .vgpr_count:     144
    .vgpr_spill_count: 0
    .wavefront_size: 64
amdhsa.target:   amdgcn-amd-amdhsa--gfx950
amdhsa.version:
  - 1
  - 2
...

	.end_amdgpu_metadata
